;; amdgpu-corpus repo=ROCm/rocFFT kind=compiled arch=gfx950 opt=O3
	.text
	.amdgcn_target "amdgcn-amd-amdhsa--gfx950"
	.amdhsa_code_object_version 6
	.protected	fft_rtc_back_len1960_factors_4_7_2_7_5_wgs_56_tpt_56_halfLds_sp_op_CI_CI_unitstride_sbrr_dirReg ; -- Begin function fft_rtc_back_len1960_factors_4_7_2_7_5_wgs_56_tpt_56_halfLds_sp_op_CI_CI_unitstride_sbrr_dirReg
	.globl	fft_rtc_back_len1960_factors_4_7_2_7_5_wgs_56_tpt_56_halfLds_sp_op_CI_CI_unitstride_sbrr_dirReg
	.p2align	8
	.type	fft_rtc_back_len1960_factors_4_7_2_7_5_wgs_56_tpt_56_halfLds_sp_op_CI_CI_unitstride_sbrr_dirReg,@function
fft_rtc_back_len1960_factors_4_7_2_7_5_wgs_56_tpt_56_halfLds_sp_op_CI_CI_unitstride_sbrr_dirReg: ; @fft_rtc_back_len1960_factors_4_7_2_7_5_wgs_56_tpt_56_halfLds_sp_op_CI_CI_unitstride_sbrr_dirReg
; %bb.0:
	s_load_dwordx4 s[4:7], s[0:1], 0x58
	s_load_dwordx4 s[8:11], s[0:1], 0x0
	;; [unrolled: 1-line block ×3, first 2 shown]
	v_mul_u32_u24_e32 v1, 0x493, v0
	v_add_u32_sdwa v4, s2, v1 dst_sel:DWORD dst_unused:UNUSED_PAD src0_sel:DWORD src1_sel:WORD_1
	v_mov_b32_e32 v2, 0
	s_waitcnt lgkmcnt(0)
	v_cmp_lt_u64_e64 s[2:3], s[10:11], 2
	v_mov_b32_e32 v5, v2
	s_and_b64 vcc, exec, s[2:3]
	v_mov_b64_e32 v[62:63], 0
	s_cbranch_vccnz .LBB0_8
; %bb.1:
	s_load_dwordx2 s[2:3], s[0:1], 0x10
	s_add_u32 s16, s14, 8
	s_addc_u32 s17, s15, 0
	s_add_u32 s18, s12, 8
	s_addc_u32 s19, s13, 0
	s_waitcnt lgkmcnt(0)
	s_add_u32 s20, s2, 8
	v_mov_b64_e32 v[62:63], 0
	s_addc_u32 s21, s3, 0
	s_mov_b64 s[22:23], 1
	v_mov_b64_e32 v[12:13], v[62:63]
.LBB0_2:                                ; =>This Inner Loop Header: Depth=1
	s_load_dwordx2 s[24:25], s[20:21], 0x0
                                        ; implicit-def: $vgpr14_vgpr15
	s_waitcnt lgkmcnt(0)
	v_or_b32_e32 v3, s25, v5
	v_cmp_ne_u64_e32 vcc, 0, v[2:3]
	s_and_saveexec_b64 s[2:3], vcc
	s_xor_b64 s[26:27], exec, s[2:3]
	s_cbranch_execz .LBB0_4
; %bb.3:                                ;   in Loop: Header=BB0_2 Depth=1
	v_cvt_f32_u32_e32 v1, s24
	v_cvt_f32_u32_e32 v3, s25
	s_sub_u32 s2, 0, s24
	s_subb_u32 s3, 0, s25
	v_fmac_f32_e32 v1, 0x4f800000, v3
	v_rcp_f32_e32 v1, v1
	s_nop 0
	v_mul_f32_e32 v1, 0x5f7ffffc, v1
	v_mul_f32_e32 v3, 0x2f800000, v1
	v_trunc_f32_e32 v3, v3
	v_fmac_f32_e32 v1, 0xcf800000, v3
	v_cvt_u32_f32_e32 v3, v3
	v_cvt_u32_f32_e32 v1, v1
	v_mul_lo_u32 v6, s2, v3
	v_mul_hi_u32 v8, s2, v1
	v_mul_lo_u32 v7, s3, v1
	v_add_u32_e32 v8, v8, v6
	v_mul_lo_u32 v10, s2, v1
	v_add_u32_e32 v11, v8, v7
	v_mul_hi_u32 v6, v1, v10
	v_mul_hi_u32 v9, v1, v11
	v_mul_lo_u32 v8, v1, v11
	v_mov_b32_e32 v7, v2
	v_lshl_add_u64 v[6:7], v[6:7], 0, v[8:9]
	v_mul_hi_u32 v9, v3, v10
	v_mul_lo_u32 v10, v3, v10
	v_add_co_u32_e32 v6, vcc, v6, v10
	v_mul_hi_u32 v8, v3, v11
	s_nop 0
	v_addc_co_u32_e32 v6, vcc, v7, v9, vcc
	v_mov_b32_e32 v7, v2
	s_nop 0
	v_addc_co_u32_e32 v9, vcc, 0, v8, vcc
	v_mul_lo_u32 v8, v3, v11
	v_lshl_add_u64 v[6:7], v[6:7], 0, v[8:9]
	v_add_co_u32_e32 v1, vcc, v1, v6
	v_mul_lo_u32 v8, s2, v1
	s_nop 0
	v_addc_co_u32_e32 v3, vcc, v3, v7, vcc
	v_mul_lo_u32 v6, s2, v3
	v_mul_hi_u32 v7, s2, v1
	v_add_u32_e32 v6, v7, v6
	v_mul_lo_u32 v7, s3, v1
	v_add_u32_e32 v10, v6, v7
	v_mul_hi_u32 v14, v3, v8
	v_mul_lo_u32 v15, v3, v8
	v_mul_hi_u32 v7, v1, v10
	v_mul_lo_u32 v6, v1, v10
	v_mul_hi_u32 v8, v1, v8
	v_mov_b32_e32 v9, v2
	v_lshl_add_u64 v[6:7], v[8:9], 0, v[6:7]
	v_add_co_u32_e32 v6, vcc, v6, v15
	v_mul_hi_u32 v11, v3, v10
	s_nop 0
	v_addc_co_u32_e32 v6, vcc, v7, v14, vcc
	v_mul_lo_u32 v8, v3, v10
	s_nop 0
	v_addc_co_u32_e32 v9, vcc, 0, v11, vcc
	v_mov_b32_e32 v7, v2
	v_lshl_add_u64 v[6:7], v[6:7], 0, v[8:9]
	v_add_co_u32_e32 v1, vcc, v1, v6
	v_mul_hi_u32 v8, v4, v1
	s_nop 0
	v_addc_co_u32_e32 v3, vcc, v3, v7, vcc
	v_mad_u64_u32 v[6:7], s[2:3], v4, v3, 0
	v_mov_b32_e32 v9, v2
	v_lshl_add_u64 v[6:7], v[8:9], 0, v[6:7]
	v_mad_u64_u32 v[10:11], s[2:3], v5, v1, 0
	v_add_co_u32_e32 v1, vcc, v6, v10
	v_mad_u64_u32 v[8:9], s[2:3], v5, v3, 0
	s_nop 0
	v_addc_co_u32_e32 v6, vcc, v7, v11, vcc
	v_mov_b32_e32 v7, v2
	s_nop 0
	v_addc_co_u32_e32 v9, vcc, 0, v9, vcc
	v_lshl_add_u64 v[6:7], v[6:7], 0, v[8:9]
	v_mul_lo_u32 v1, s25, v6
	v_mul_lo_u32 v3, s24, v7
	v_mad_u64_u32 v[8:9], s[2:3], s24, v6, 0
	v_add3_u32 v1, v9, v3, v1
	v_sub_u32_e32 v3, v5, v1
	v_mov_b32_e32 v9, s25
	v_sub_co_u32_e32 v14, vcc, v4, v8
	v_lshl_add_u64 v[10:11], v[6:7], 0, 1
	s_nop 0
	v_subb_co_u32_e64 v3, s[2:3], v3, v9, vcc
	v_subrev_co_u32_e64 v8, s[2:3], s24, v14
	v_subb_co_u32_e32 v1, vcc, v5, v1, vcc
	s_nop 0
	v_subbrev_co_u32_e64 v3, s[2:3], 0, v3, s[2:3]
	v_cmp_le_u32_e64 s[2:3], s25, v3
	v_cmp_le_u32_e32 vcc, s25, v1
	s_nop 0
	v_cndmask_b32_e64 v9, 0, -1, s[2:3]
	v_cmp_le_u32_e64 s[2:3], s24, v8
	s_nop 1
	v_cndmask_b32_e64 v8, 0, -1, s[2:3]
	v_cmp_eq_u32_e64 s[2:3], s25, v3
	s_nop 1
	v_cndmask_b32_e64 v3, v9, v8, s[2:3]
	v_lshl_add_u64 v[8:9], v[6:7], 0, 2
	v_cmp_ne_u32_e64 s[2:3], 0, v3
	s_nop 1
	v_cndmask_b32_e64 v3, v11, v9, s[2:3]
	v_cndmask_b32_e64 v9, 0, -1, vcc
	v_cmp_le_u32_e32 vcc, s24, v14
	s_nop 1
	v_cndmask_b32_e64 v11, 0, -1, vcc
	v_cmp_eq_u32_e32 vcc, s25, v1
	s_nop 1
	v_cndmask_b32_e32 v1, v9, v11, vcc
	v_cmp_ne_u32_e32 vcc, 0, v1
	v_cndmask_b32_e64 v1, v10, v8, s[2:3]
	s_nop 0
	v_cndmask_b32_e32 v15, v7, v3, vcc
	v_cndmask_b32_e32 v14, v6, v1, vcc
.LBB0_4:                                ;   in Loop: Header=BB0_2 Depth=1
	s_andn2_saveexec_b64 s[2:3], s[26:27]
	s_cbranch_execz .LBB0_6
; %bb.5:                                ;   in Loop: Header=BB0_2 Depth=1
	v_cvt_f32_u32_e32 v1, s24
	s_sub_i32 s26, 0, s24
	v_mov_b32_e32 v15, v2
	v_rcp_iflag_f32_e32 v1, v1
	s_nop 0
	v_mul_f32_e32 v1, 0x4f7ffffe, v1
	v_cvt_u32_f32_e32 v1, v1
	v_mul_lo_u32 v3, s26, v1
	v_mul_hi_u32 v3, v1, v3
	v_add_u32_e32 v1, v1, v3
	v_mul_hi_u32 v1, v4, v1
	v_mul_lo_u32 v3, v1, s24
	v_sub_u32_e32 v3, v4, v3
	v_add_u32_e32 v6, 1, v1
	v_subrev_u32_e32 v7, s24, v3
	v_cmp_le_u32_e32 vcc, s24, v3
	s_nop 1
	v_cndmask_b32_e32 v3, v3, v7, vcc
	v_cndmask_b32_e32 v1, v1, v6, vcc
	v_add_u32_e32 v6, 1, v1
	v_cmp_le_u32_e32 vcc, s24, v3
	s_nop 1
	v_cndmask_b32_e32 v14, v1, v6, vcc
.LBB0_6:                                ;   in Loop: Header=BB0_2 Depth=1
	s_or_b64 exec, exec, s[2:3]
	v_mad_u64_u32 v[6:7], s[2:3], v14, s24, 0
	s_load_dwordx2 s[2:3], s[18:19], 0x0
	v_mul_lo_u32 v1, v15, s24
	v_mul_lo_u32 v3, v14, s25
	s_load_dwordx2 s[24:25], s[16:17], 0x0
	s_add_u32 s22, s22, 1
	v_add3_u32 v1, v7, v3, v1
	v_sub_co_u32_e32 v3, vcc, v4, v6
	s_addc_u32 s23, s23, 0
	s_nop 0
	v_subb_co_u32_e32 v1, vcc, v5, v1, vcc
	s_add_u32 s16, s16, 8
	s_waitcnt lgkmcnt(0)
	v_mul_lo_u32 v4, s2, v1
	v_mul_lo_u32 v5, s3, v3
	v_mad_u64_u32 v[62:63], s[2:3], s2, v3, v[62:63]
	s_addc_u32 s17, s17, 0
	v_add3_u32 v63, v5, v63, v4
	v_mul_lo_u32 v1, s24, v1
	v_mul_lo_u32 v4, s25, v3
	v_mad_u64_u32 v[12:13], s[2:3], s24, v3, v[12:13]
	s_add_u32 s18, s18, 8
	v_add3_u32 v13, v4, v13, v1
	s_addc_u32 s19, s19, 0
	v_mov_b64_e32 v[4:5], s[10:11]
	s_add_u32 s20, s20, 8
	v_cmp_ge_u64_e32 vcc, s[22:23], v[4:5]
	s_addc_u32 s21, s21, 0
	s_cbranch_vccnz .LBB0_9
; %bb.7:                                ;   in Loop: Header=BB0_2 Depth=1
	v_mov_b64_e32 v[4:5], v[14:15]
	s_branch .LBB0_2
.LBB0_8:
	v_mov_b64_e32 v[12:13], v[62:63]
	v_mov_b64_e32 v[14:15], v[4:5]
.LBB0_9:
	s_load_dwordx2 s[2:3], s[0:1], 0x28
	s_lshl_b64 s[16:17], s[10:11], 3
	s_add_u32 s10, s14, s16
	s_addc_u32 s11, s15, s17
                                        ; implicit-def: $sgpr14
                                        ; implicit-def: $vgpr98
                                        ; implicit-def: $vgpr96
	s_waitcnt lgkmcnt(0)
	v_cmp_gt_u64_e64 s[0:1], s[2:3], v[14:15]
	v_cmp_le_u64_e32 vcc, s[2:3], v[14:15]
	s_and_saveexec_b64 s[2:3], vcc
	s_xor_b64 s[2:3], exec, s[2:3]
; %bb.10:
	s_mov_b32 s14, 0x4924925
	v_mul_hi_u32 v1, v0, s14
	v_mul_u32_u24_e32 v1, 56, v1
	v_sub_u32_e32 v98, v0, v1
	v_or_b32_e32 v96, 0x1c0, v98
	s_mov_b32 s14, 0
                                        ; implicit-def: $vgpr0
                                        ; implicit-def: $vgpr62_vgpr63
; %bb.11:
	s_or_saveexec_b64 s[2:3], s[2:3]
	s_load_dwordx2 s[10:11], s[10:11], 0x0
	v_mov_b32_e32 v2, s14
	v_mov_b32_e32 v3, s14
	;; [unrolled: 1-line block ×4, first 2 shown]
                                        ; implicit-def: $vgpr55
                                        ; implicit-def: $vgpr19
                                        ; implicit-def: $vgpr59
                                        ; implicit-def: $vgpr21
                                        ; implicit-def: $vgpr77
                                        ; implicit-def: $vgpr41
                                        ; implicit-def: $vgpr93
                                        ; implicit-def: $vgpr75
                                        ; implicit-def: $vgpr70
                                        ; implicit-def: $vgpr66
                                        ; implicit-def: $vgpr68
                                        ; implicit-def: $vgpr48
                                        ; implicit-def: $vgpr95
                                        ; implicit-def: $vgpr73
                                        ; implicit-def: $vgpr60
                                        ; implicit-def: $vgpr4
                                        ; implicit-def: $vgpr91
                                        ; implicit-def: $vgpr74
                                        ; implicit-def: $vgpr64
                                        ; implicit-def: $vgpr76
                                        ; implicit-def: $vgpr52
                                        ; implicit-def: $vgpr6
                                        ; implicit-def: $vgpr89
                                        ; implicit-def: $vgpr58
                                        ; implicit-def: $vgpr56
                                        ; implicit-def: $vgpr72
                                        ; implicit-def: $vgpr44
                                        ; implicit-def: $vgpr8
                                        ; implicit-def: $vgpr85
                                        ; implicit-def: $vgpr50
                                        ; implicit-def: $vgpr38
                                        ; implicit-def: $vgpr40
                                        ; implicit-def: $vgpr54
                                        ; implicit-def: $vgpr42
                                        ; implicit-def: $vgpr10
                                        ; implicit-def: $vgpr87
                                        ; implicit-def: $vgpr47
                                        ; implicit-def: $vgpr36
                                        ; implicit-def: $vgpr26
                                        ; implicit-def: $vgpr83
                                        ; implicit-def: $vgpr18
                                        ; implicit-def: $vgpr20
                                        ; implicit-def: $vgpr32
                                        ; implicit-def: $vgpr28
                                        ; implicit-def: $vgpr81
                                        ; implicit-def: $vgpr35
                                        ; implicit-def: $vgpr22
                                        ; implicit-def: $vgpr30
                                        ; implicit-def: $vgpr79
                                        ; implicit-def: $vgpr25
	s_xor_b64 exec, exec, s[2:3]
	s_cbranch_execz .LBB0_15
; %bb.12:
	s_add_u32 s12, s12, s16
	s_addc_u32 s13, s13, s17
	s_load_dwordx2 s[12:13], s[12:13], 0x0
	s_mov_b32 s14, 0x4924925
	v_mov_b32_e32 v17, 0
                                        ; implicit-def: $vgpr67
                                        ; implicit-def: $vgpr71
	s_waitcnt lgkmcnt(0)
	v_mul_lo_u32 v1, s13, v14
	v_mul_lo_u32 v4, s12, v15
	v_mad_u64_u32 v[2:3], s[12:13], s12, v14, 0
	v_add3_u32 v3, v3, v4, v1
	v_mul_hi_u32 v1, v0, s14
	v_mul_u32_u24_e32 v1, 56, v1
	v_sub_u32_e32 v98, v0, v1
	v_lshl_add_u64 v[0:1], v[2:3], 3, s[4:5]
	v_lshl_add_u64 v[0:1], v[62:63], 3, v[0:1]
	v_lshlrev_b32_e32 v16, 3, v98
	v_lshl_add_u64 v[48:49], v[0:1], 0, v[16:17]
	s_movk_i32 s4, 0x1000
	v_add_co_u32_e32 v0, vcc, s4, v48
	s_movk_i32 s4, 0x2000
	s_nop 0
	v_addc_co_u32_e32 v1, vcc, 0, v49, vcc
	v_add_co_u32_e32 v2, vcc, s4, v48
	s_movk_i32 s4, 0x3000
	s_nop 0
	v_addc_co_u32_e32 v3, vcc, 0, v49, vcc
	v_add_co_u32_e32 v54, vcc, s4, v48
	v_or_b32_e32 v96, 0x1c0, v98
	s_nop 0
	v_addc_co_u32_e32 v55, vcc, 0, v49, vcc
	global_load_dwordx2 v[68:69], v[48:49], off
	global_load_dwordx2 v[60:61], v[48:49], off offset:448
	global_load_dwordx2 v[52:53], v[48:49], off offset:896
	;; [unrolled: 1-line block ×29, first 2 shown]
                                        ; kill: killed $vgpr0 killed $vgpr1
                                        ; kill: killed $vgpr2 killed $vgpr3
	global_load_dwordx2 v[20:21], v[54:55], off offset:2160
	global_load_dwordx2 v[18:19], v[54:55], off offset:2608
	s_movk_i32 s4, 0x1ea
	v_cmp_gt_u32_e32 vcc, s4, v96
	v_mov_b32_e32 v1, v17
	v_mov_b32_e32 v3, v17
	;; [unrolled: 1-line block ×3, first 2 shown]
	s_and_saveexec_b64 s[4:5], vcc
	s_cbranch_execz .LBB0_14
; %bb.13:
	v_add_co_u32_e32 v0, vcc, 0x1000, v48
	s_nop 1
	v_addc_co_u32_e32 v1, vcc, 0, v49, vcc
	v_add_co_u32_e32 v54, vcc, 0x2000, v48
	s_nop 1
	v_addc_co_u32_e32 v55, vcc, 0, v49, vcc
	;; [unrolled: 3-line block ×3, first 2 shown]
	global_load_dwordx2 v[2:3], v[48:49], off offset:3584
	global_load_dwordx2 v[16:17], v[0:1], off offset:3408
	;; [unrolled: 1-line block ×4, first 2 shown]
	s_waitcnt vmcnt(2)
	v_mov_b32_e32 v1, v16
.LBB0_14:
	s_or_b64 exec, exec, s[4:5]
	s_waitcnt vmcnt(0)
	v_mov_b32_e32 v55, v18
	v_mov_b32_e32 v59, v20
	;; [unrolled: 1-line block ×44, first 2 shown]
.LBB0_15:
	s_or_b64 exec, exec, s[2:3]
	v_mov_b32_e32 v0, v69
	v_sub_f32_e32 v92, v73, v75
	v_add_f32_e32 v94, v73, v73
	v_pk_add_f32 v[62:63], v[68:69], v[0:1] neg_lo:[0,1] neg_hi:[0,1]
	v_add_f32_e32 v90, v74, v74
	v_fma_f32 v100, v68, 2.0, -v62
	v_pk_add_f32 v[68:69], v[94:95], v[92:93] neg_lo:[0,1] neg_hi:[0,1]
	v_mov_b32_e32 v101, v62
	v_fma_f32 v62, v95, 2.0, -v69
	v_mov_b32_e32 v63, v92
	v_pk_add_f32 v[94:95], v[100:101], v[62:63] neg_lo:[0,1] neg_hi:[0,1]
	v_pk_add_f32 v[62:63], v[100:101], v[62:63]
	v_pk_add_f32 v[74:75], v[74:75], v[76:77] op_sel_hi:[1,0] neg_lo:[0,1] neg_hi:[0,1]
	v_mov_b32_e32 v0, v61
	v_mov_b32_e32 v95, v63
	v_pk_add_f32 v[62:63], v[60:61], v[0:1] neg_lo:[0,1] neg_hi:[0,1]
	v_mov_b32_e32 v75, v64
	v_fma_f32 v60, v60, 2.0, -v62
	v_mov_b32_e32 v61, v62
	v_pk_add_f32 v[62:63], v[90:91], v[74:75] neg_lo:[0,1] neg_hi:[0,1]
	v_mov_b32_e32 v39, v74
	v_fma_f32 v0, v91, 2.0, -v63
	v_pk_add_f32 v[64:65], v[60:61], v[0:1] neg_lo:[0,1] neg_hi:[0,1]
	v_pk_add_f32 v[74:75], v[60:61], v[38:39]
	v_add_u32_e32 v99, 56, v98
	v_mov_b32_e32 v65, v75
	v_pk_fma_f32 v[60:61], v[60:61], 2.0, v[64:65] op_sel_hi:[1,0,1] neg_lo:[0,0,1] neg_hi:[0,0,1]
	v_lshl_add_u32 v90, v99, 4, 0
	ds_write2_b64 v90, v[60:61], v[64:65] offset1:1
	v_pk_add_f32 v[64:65], v[16:17], v[66:67] neg_lo:[0,1] neg_hi:[0,1]
	v_mov_b32_e32 v24, v53
	v_mov_b32_e32 v16, v65
	;; [unrolled: 1-line block ×4, first 2 shown]
	v_pk_add_f32 v[66:67], v[58:59], v[72:73] op_sel_hi:[1,0] neg_lo:[0,1] neg_hi:[0,1]
	v_add_f32_e32 v88, v58, v58
	v_pk_add_f32 v[60:61], v[2:3], v[70:71] neg_lo:[0,1] neg_hi:[0,1]
	v_pk_add_f32 v[70:71], v[52:53], v[24:25] neg_lo:[0,1] neg_hi:[0,1]
	v_mov_b32_e32 v67, v56
	v_add_f32_e32 v0, v17, v17
	v_pk_add_f32 v[16:17], v[60:61], v[16:17]
	v_fma_f32 v72, v52, 2.0, -v70
	v_pk_add_f32 v[52:53], v[88:89], v[66:67] neg_lo:[0,1] neg_hi:[0,1]
	v_mov_b32_e32 v73, v70
	v_fma_f32 v24, v89, 2.0, -v53
	v_mov_b32_e32 v17, v66
	v_pk_fma_f32 v[100:101], v[100:101], 2.0, v[94:95] op_sel_hi:[1,0,1] neg_lo:[0,0,1] neg_hi:[0,0,1]
	v_lshl_add_u32 v92, v98, 4, 0
	v_pk_add_f32 v[56:57], v[72:73], v[24:25] neg_lo:[0,1] neg_hi:[0,1]
	v_pk_add_f32 v[66:67], v[72:73], v[16:17]
	ds_write2_b64 v92, v[100:101], v[94:95] offset1:1
	v_add_u32_e32 v100, 0x70, v98
	v_mov_b32_e32 v57, v67
	v_pk_add_f32 v[64:65], v[0:1], v[64:65] neg_lo:[0,1] neg_hi:[0,1]
	v_lshl_add_u32 v0, v100, 4, 0
	v_pk_fma_f32 v[70:71], v[72:73], 2.0, v[56:57] op_sel_hi:[1,0,1] neg_lo:[0,0,1] neg_hi:[0,0,1]
	ds_write2_b64 v0, v[70:71], v[56:57] offset1:1
	v_mov_b32_e32 v24, v45
	v_pk_add_f32 v[70:71], v[40:41], v[54:55] op_sel_hi:[1,0] neg_lo:[0,1] neg_hi:[0,1]
	v_add_f32_e32 v84, v40, v40
	v_pk_add_f32 v[56:57], v[44:45], v[24:25] neg_lo:[0,1] neg_hi:[0,1]
	v_mov_b32_e32 v71, v50
	v_fma_f32 v66, v44, 2.0, -v56
	v_pk_add_f32 v[44:45], v[84:85], v[70:71] neg_lo:[0,1] neg_hi:[0,1]
	v_mov_b32_e32 v67, v56
	v_fma_f32 v24, v85, 2.0, -v45
	v_mov_b32_e32 v17, v70
	v_pk_add_f32 v[50:51], v[66:67], v[24:25] neg_lo:[0,1] neg_hi:[0,1]
	v_pk_add_f32 v[56:57], v[66:67], v[16:17]
	v_add_u32_e32 v101, 0xa8, v98
	v_mov_b32_e32 v51, v57
	v_lshl_add_u32 v88, v101, 4, 0
	v_pk_fma_f32 v[66:67], v[66:67], 2.0, v[50:51] op_sel_hi:[1,0,1] neg_lo:[0,0,1] neg_hi:[0,0,1]
	v_mov_b32_e32 v24, v43
	v_add_f32_e32 v86, v47, v47
	ds_write2_b64 v88, v[66:67], v[50:51] offset1:1
	v_pk_add_f32 v[50:51], v[42:43], v[24:25] neg_lo:[0,1] neg_hi:[0,1]
	v_sub_f32_e32 v76, v47, v41
	v_fma_f32 v40, v42, 2.0, -v50
	v_pk_add_f32 v[42:43], v[86:87], v[76:77] neg_lo:[0,1] neg_hi:[0,1]
	v_mov_b32_e32 v41, v50
	v_fma_f32 v46, v87, 2.0, -v43
	v_mov_b32_e32 v47, v76
	v_pk_add_f32 v[50:51], v[40:41], v[46:47] neg_lo:[0,1] neg_hi:[0,1]
	v_pk_add_f32 v[46:47], v[40:41], v[46:47]
	v_add_u32_e32 v103, 0xe0, v98
	v_mov_b32_e32 v51, v47
	v_pk_add_f32 v[46:47], v[18:19], v[20:21] op_sel_hi:[1,0] neg_lo:[0,1] neg_hi:[0,1]
	v_add_f32_e32 v82, v18, v18
	v_lshl_add_u32 v85, v103, 4, 0
	v_pk_fma_f32 v[40:41], v[40:41], 2.0, v[50:51] op_sel_hi:[1,0,1] neg_lo:[0,0,1] neg_hi:[0,0,1]
	v_mov_b32_e32 v24, v37
	v_mov_b32_e32 v47, v38
	ds_write2_b64 v85, v[40:41], v[50:51] offset1:1
	v_pk_add_f32 v[40:41], v[36:37], v[24:25] neg_lo:[0,1] neg_hi:[0,1]
	v_pk_add_f32 v[38:39], v[82:83], v[46:47] neg_lo:[0,1] neg_hi:[0,1]
	v_fma_f32 v36, v36, 2.0, -v40
	v_mov_b32_e32 v37, v40
	v_fma_f32 v18, v83, 2.0, -v39
	v_mov_b32_e32 v17, v46
	v_pk_add_f32 v[40:41], v[36:37], v[18:19] neg_lo:[0,1] neg_hi:[0,1]
	v_pk_add_f32 v[46:47], v[36:37], v[16:17]
	v_add_u32_e32 v102, 0x118, v98
	v_mov_b32_e32 v41, v47
	v_add_f32_e32 v80, v35, v35
	v_lshl_add_u32 v84, v102, 4, 0
	v_pk_fma_f32 v[36:37], v[36:37], 2.0, v[40:41] op_sel_hi:[1,0,1] neg_lo:[0,0,1] neg_hi:[0,0,1]
	v_mov_b32_e32 v18, v33
	v_sub_f32_e32 v58, v35, v21
	ds_write2_b64 v84, v[36:37], v[40:41] offset1:1
	v_pk_add_f32 v[36:37], v[32:33], v[18:19] neg_lo:[0,1] neg_hi:[0,1]
	v_pk_add_f32 v[74:75], v[80:81], v[58:59] neg_lo:[0,1] neg_hi:[0,1]
	v_fma_f32 v20, v32, 2.0, -v36
	v_mov_b32_e32 v21, v36
	v_fma_f32 v32, v81, 2.0, -v75
	v_mov_b32_e32 v33, v58
	v_pk_add_f32 v[34:35], v[20:21], v[32:33] neg_lo:[0,1] neg_hi:[0,1]
	v_pk_add_f32 v[32:33], v[20:21], v[32:33]
	v_add_u32_e32 v104, 0x150, v98
	v_mov_b32_e32 v35, v33
	v_add_f32_e32 v78, v25, v25
	v_lshl_add_u32 v86, v104, 4, 0
	v_pk_fma_f32 v[20:21], v[20:21], 2.0, v[34:35] op_sel_hi:[1,0,1] neg_lo:[0,0,1] neg_hi:[0,0,1]
	v_mov_b32_e32 v18, v23
	v_sub_f32_e32 v54, v25, v19
	ds_write2_b64 v86, v[20:21], v[34:35] offset1:1
	v_pk_add_f32 v[20:21], v[22:23], v[18:19] neg_lo:[0,1] neg_hi:[0,1]
	v_pk_add_f32 v[76:77], v[78:79], v[54:55] neg_lo:[0,1] neg_hi:[0,1]
	v_fma_f32 v18, v22, 2.0, -v20
	v_mov_b32_e32 v19, v20
	v_fma_f32 v20, v79, 2.0, -v77
	v_mov_b32_e32 v21, v54
	v_pk_add_f32 v[22:23], v[18:19], v[20:21] neg_lo:[0,1] neg_hi:[0,1]
	v_pk_add_f32 v[20:21], v[18:19], v[20:21]
	v_add_u32_e32 v17, 0x188, v98
	v_mov_b32_e32 v23, v21
	v_lshl_add_u32 v87, v17, 4, 0
	v_pk_fma_f32 v[18:19], v[18:19], 2.0, v[22:23] op_sel_hi:[1,0,1] neg_lo:[0,0,1] neg_hi:[0,0,1]
	ds_write2_b64 v87, v[18:19], v[22:23] offset1:1
	v_cmp_gt_u32_e32 vcc, 42, v98
	v_lshl_add_u32 v22, v96, 4, 0
	s_and_saveexec_b64 s[2:3], vcc
	s_cbranch_execz .LBB0_17
; %bb.16:
	v_fma_f32 v18, v2, 2.0, -v60
	v_fma_f32 v1, v1, 2.0, -v65
	v_sub_f32_e32 v20, v18, v1
	v_mov_b32_e32 v19, v60
	v_mov_b32_e32 v21, v16
	v_pk_fma_f32 v[18:19], v[18:19], 2.0, v[20:21] op_sel_hi:[1,0,1] neg_lo:[0,0,1] neg_hi:[0,0,1]
	ds_write2_b64 v22, v[18:19], v[20:21] offset1:1
.LBB0_17:
	s_or_b64 exec, exec, s[2:3]
	v_mov_b32_e32 v2, v49
	v_pk_add_f32 v[18:19], v[48:49], v[2:3] neg_lo:[0,1] neg_hi:[0,1]
	v_lshl_add_u32 v105, v98, 2, 0
	v_fma_f32 v20, v48, 2.0, -v18
	v_mov_b32_e32 v21, v18
	v_pk_add_f32 v[18:19], v[20:21], v[68:69] neg_lo:[0,1] neg_hi:[0,1]
	v_add_u32_e32 v91, 0x800, v105
	v_pk_fma_f32 v[108:109], v[20:21], 2.0, v[18:19] op_sel_hi:[1,0,1] neg_lo:[0,0,1] neg_hi:[0,0,1]
	v_add_u32_e32 v78, 0xc00, v105
	v_add_u32_e32 v81, 0x1000, v105
	;; [unrolled: 1-line block ×8, first 2 shown]
	v_mov_b32_e32 v2, v5
	s_waitcnt lgkmcnt(0)
	; wave barrier
	s_waitcnt lgkmcnt(0)
	ds_read2_b32 v[36:37], v105 offset1:56
	v_mad_i32_i24 v1, v102, -12, v84
	ds_read2_b32 v[72:73], v91 offset0:48 offset1:104
	ds_read2_b32 v[40:41], v78 offset0:16 offset1:72
	;; [unrolled: 1-line block ×11, first 2 shown]
	ds_read2_b32 v[48:49], v95 offset1:56
	ds_read2_b32 v[34:35], v93 offset0:192 offset1:248
	ds_read2_b32 v[20:21], v82 offset0:112 offset1:168
	v_lshl_add_u32 v106, v103, 2, 0
	ds_read2_b32 v[46:47], v79 offset0:32 offset1:88
	ds_read_b32 v89, v1
	ds_read_b32 v83, v106
	ds_read_b32 v23, v105 offset:7616
	s_waitcnt lgkmcnt(0)
	; wave barrier
	s_waitcnt lgkmcnt(0)
	ds_write2_b64 v92, v[108:109], v[18:19] offset1:1
	v_pk_add_f32 v[18:19], v[4:5], v[2:3] neg_lo:[0,1] neg_hi:[0,1]
	v_mov_b32_e32 v2, v7
	v_fma_f32 v4, v4, 2.0, -v18
	v_mov_b32_e32 v5, v18
	v_pk_add_f32 v[18:19], v[6:7], v[2:3] neg_lo:[0,1] neg_hi:[0,1]
	v_mov_b32_e32 v2, v9
	v_fma_f32 v6, v6, 2.0, -v18
	v_mov_b32_e32 v7, v18
	;; [unrolled: 4-line block ×6, first 2 shown]
	v_pk_add_f32 v[18:19], v[30:31], v[2:3] neg_lo:[0,1] neg_hi:[0,1]
	v_fma_f32 v60, v3, 2.0, -v61
	v_fma_f32 v30, v30, 2.0, -v18
	v_mov_b32_e32 v31, v18
	v_pk_add_f32 v[2:3], v[4:5], v[62:63] neg_lo:[0,1] neg_hi:[0,1]
	v_pk_add_f32 v[38:39], v[26:27], v[38:39] neg_lo:[0,1] neg_hi:[0,1]
	;; [unrolled: 1-line block ×3, first 2 shown]
	v_pk_fma_f32 v[4:5], v[4:5], 2.0, v[2:3] op_sel_hi:[1,0,1] neg_lo:[0,0,1] neg_hi:[0,0,1]
	v_pk_add_f32 v[52:53], v[6:7], v[52:53] neg_lo:[0,1] neg_hi:[0,1]
	v_pk_add_f32 v[44:45], v[8:9], v[44:45] neg_lo:[0,1] neg_hi:[0,1]
	;; [unrolled: 1-line block ×3, first 2 shown]
	v_pk_fma_f32 v[62:63], v[26:27], 2.0, v[38:39] op_sel_hi:[1,0,1] neg_lo:[0,0,1] neg_hi:[0,0,1]
	v_pk_add_f32 v[64:65], v[28:29], v[74:75] neg_lo:[0,1] neg_hi:[0,1]
	v_pk_add_f32 v[74:75], v[30:31], v[76:77] neg_lo:[0,1] neg_hi:[0,1]
	v_mul_i32_i24_e32 v26, -12, v102
	v_pk_fma_f32 v[6:7], v[6:7], 2.0, v[52:53] op_sel_hi:[1,0,1] neg_lo:[0,0,1] neg_hi:[0,0,1]
	v_pk_fma_f32 v[8:9], v[8:9], 2.0, v[44:45] op_sel_hi:[1,0,1] neg_lo:[0,0,1] neg_hi:[0,0,1]
	;; [unrolled: 1-line block ×5, first 2 shown]
	ds_write2_b64 v90, v[4:5], v[2:3] offset1:1
	ds_write2_b64 v0, v[6:7], v[52:53] offset1:1
	;; [unrolled: 1-line block ×7, first 2 shown]
	s_and_saveexec_b64 s[2:3], vcc
	s_cbranch_execz .LBB0_19
; %bb.18:
	v_pk_fma_f32 v[0:1], v[60:61], 2.0, v[18:19] op_sel_hi:[1,0,1] neg_lo:[0,0,1] neg_hi:[0,0,1]
	ds_write2_b64 v22, v[0:1], v[18:19] offset1:1
.LBB0_19:
	s_or_b64 exec, exec, s[2:3]
	v_and_b32_e32 v92, 3, v98
	v_mul_u32_u24_e32 v0, 6, v92
	v_lshlrev_b32_e32 v18, 3, v0
	s_waitcnt lgkmcnt(0)
	; wave barrier
	s_waitcnt lgkmcnt(0)
	global_load_dwordx4 v[8:11], v18, s[8:9]
	global_load_dwordx4 v[4:7], v18, s[8:9] offset:16
	global_load_dwordx4 v[0:3], v18, s[8:9] offset:32
	v_add_u32_e32 v107, v84, v26
	ds_read2_b32 v[42:43], v91 offset0:48 offset1:104
	ds_read2_b32 v[44:45], v78 offset0:16 offset1:72
	;; [unrolled: 1-line block ×10, first 2 shown]
	ds_read2_b32 v[130:131], v95 offset1:56
	ds_read2_b32 v[38:39], v93 offset0:192 offset1:248
	ds_read_b32 v22, v107
	ds_read2_b32 v[26:27], v82 offset0:112 offset1:168
	ds_read2_b32 v[132:133], v79 offset0:32 offset1:88
	ds_read_b32 v18, v106
	ds_read_b32 v29, v105 offset:7616
	s_mov_b32 s4, 0x3f3bfb3b
	s_mov_b32 s5, 0xbf3bfb3b
	;; [unrolled: 1-line block ×8, first 2 shown]
	v_cmp_gt_u32_e32 vcc, 28, v98
	s_waitcnt vmcnt(2)
	v_mul_f32_e32 v28, v89, v9
	s_waitcnt lgkmcnt(4)
	v_mul_f32_e32 v65, v22, v9
	s_waitcnt vmcnt(1)
	v_mul_f32_e32 v93, v66, v7
	v_fma_f32 v123, v22, v8, -v28
	v_mul_f32_e32 v22, v50, v7
	v_mul_f32_e32 v84, v86, v7
	v_fma_f32 v125, v86, v6, -v93
	v_fma_f32 v86, v128, v6, -v22
	s_waitcnt vmcnt(0)
	v_mul_f32_e32 v22, v57, v1
	v_mul_f32_e32 v91, v41, v5
	;; [unrolled: 1-line block ×3, first 2 shown]
	v_fmac_f32_e32 v65, v89, v8
	v_fma_f32 v89, v117, v0, -v22
	v_mul_f32_e32 v22, v48, v3
	v_mul_f32_e32 v75, v116, v1
	;; [unrolled: 1-line block ×3, first 2 shown]
	v_fma_f32 v122, v45, v4, -v91
	v_fmac_f32_e32 v53, v54, v10
	v_fma_f32 v91, v130, v2, -v22
	v_mul_f32_e32 v22, v34, v9
	v_mul_f32_e32 v54, v119, v11
	;; [unrolled: 1-line block ×3, first 2 shown]
	v_fmac_f32_e32 v75, v56, v0
	v_fma_f32 v56, v38, v8, -v22
	v_fmac_f32_e32 v54, v55, v10
	v_mul_f32_e32 v22, v55, v11
	s_waitcnt lgkmcnt(3)
	v_mul_f32_e32 v55, v26, v5
	v_mul_f32_e32 v63, v114, v5
	;; [unrolled: 1-line block ×3, first 2 shown]
	v_fmac_f32_e32 v55, v20, v4
	v_mul_f32_e32 v20, v20, v5
	v_mul_f32_e32 v61, v110, v9
	;; [unrolled: 1-line block ×4, first 2 shown]
	v_fmac_f32_e32 v63, v58, v4
	v_fmac_f32_e32 v60, v59, v4
	v_fma_f32 v58, v26, v4, -v20
	v_mul_f32_e32 v59, v129, v7
	v_mul_f32_e32 v20, v51, v7
	;; [unrolled: 1-line block ×10, first 2 shown]
	v_fmac_f32_e32 v84, v66, v6
	v_fmac_f32_e32 v61, v68, v8
	;; [unrolled: 1-line block ×3, first 2 shown]
	v_fma_f32 v51, v129, v6, -v20
	s_waitcnt lgkmcnt(2)
	v_mul_f32_e32 v66, v132, v1
	v_mul_f32_e32 v20, v46, v1
	;; [unrolled: 1-line block ×7, first 2 shown]
	v_fmac_f32_e32 v74, v72, v10
	v_fma_f32 v121, v42, v10, -v90
	v_fmac_f32_e32 v85, v33, v0
	v_fmac_f32_e32 v88, v70, v2
	v_fma_f32 v127, v108, v2, -v95
	v_fma_f32 v95, v110, v8, -v97
	v_fmac_f32_e32 v64, v67, v6
	v_fma_f32 v97, v87, v6, -v120
	v_mul_f32_e32 v87, v117, v1
	v_mul_f32_e32 v90, v130, v3
	v_fmac_f32_e32 v66, v46, v0
	v_fma_f32 v67, v132, v0, -v20
	v_fmac_f32_e32 v68, v49, v2
	v_mul_f32_e32 v20, v49, v3
	v_mul_f32_e32 v46, v44, v11
	;; [unrolled: 1-line block ×5, first 2 shown]
	v_fmac_f32_e32 v62, v73, v10
	v_fmac_f32_e32 v76, v41, v4
	v_fma_f32 v126, v31, v0, -v94
	v_fma_f32 v93, v43, v10, -v112
	;; [unrolled: 1-line block ×5, first 2 shown]
	v_fmac_f32_e32 v87, v57, v0
	v_fmac_f32_e32 v90, v48, v2
	v_fma_f32 v57, v119, v10, -v22
	v_fmac_f32_e32 v46, v40, v10
	v_fma_f32 v48, v44, v10, -v11
	;; [unrolled: 2-line block ×3, first 2 shown]
	v_add_f32_e32 v0, v65, v88
	v_add_f32_e32 v10, v74, v85
	v_fma_f32 v73, v131, v2, -v20
	v_sub_f32_e32 v11, v121, v126
	v_add_f32_e32 v20, v76, v84
	v_sub_f32_e32 v22, v125, v122
	v_add_f32_e32 v26, v10, v0
	v_sub_f32_e32 v1, v123, v127
	v_sub_f32_e32 v28, v10, v0
	v_sub_f32_e32 v0, v0, v20
	v_sub_f32_e32 v10, v20, v10
	v_add_f32_e32 v31, v22, v11
	v_sub_f32_e32 v33, v22, v11
	v_add_f32_e32 v20, v20, v26
	v_mul_f32_e32 v72, v128, v7
	v_sub_f32_e32 v22, v1, v22
	v_sub_f32_e32 v11, v11, v1
	v_add_f32_e32 v1, v31, v1
	v_add_f32_e32 v26, v36, v20
	v_mul_f32_e32 v0, 0x3f4a47b2, v0
	v_mul_f32_e32 v31, 0x3d64c772, v10
	;; [unrolled: 1-line block ×4, first 2 shown]
	v_fmac_f32_e32 v72, v50, v6
	v_mul_f32_e32 v50, v38, v9
	v_fmamk_f32 v20, v20, 0xbf955555, v26
	v_fma_f32 v31, v28, s4, -v31
	v_fma_f32 v28, v28, s5, -v0
	v_fmac_f32_e32 v0, 0x3d64c772, v10
	v_fma_f32 v10, v11, s12, -v33
	v_fmac_f32_e32 v33, 0xbeae86e6, v22
	v_fmac_f32_e32 v77, v71, v2
	;; [unrolled: 1-line block ×3, first 2 shown]
	v_mul_f32_e32 v34, 0x3f5ff5aa, v11
	v_add_f32_e32 v0, v0, v20
	v_add_f32_e32 v11, v31, v20
	v_fmac_f32_e32 v33, 0xbee1c552, v1
	v_fmac_f32_e32 v10, 0xbee1c552, v1
	v_mul_f32_e32 v134, v71, v3
	v_fma_f32 v71, v115, v4, -v137
	v_fmac_f32_e32 v34, 0x3eae86e6, v22
	v_add_f32_e32 v108, v33, v0
	v_sub_f32_e32 v110, v11, v10
	v_add_f32_e32 v112, v10, v11
	v_sub_f32_e32 v115, v0, v33
	v_add_f32_e32 v0, v61, v77
	v_add_f32_e32 v10, v62, v75
	v_fma_f32 v114, v109, v2, -v134
	v_add_f32_e32 v20, v28, v20
	v_fmac_f32_e32 v34, 0xbee1c552, v1
	v_sub_f32_e32 v11, v93, v113
	v_add_f32_e32 v22, v63, v64
	v_sub_f32_e32 v28, v97, v94
	v_add_f32_e32 v31, v10, v0
	v_add_f32_e32 v109, v34, v20
	v_sub_f32_e32 v20, v20, v34
	v_sub_f32_e32 v1, v95, v114
	;; [unrolled: 1-line block ×5, first 2 shown]
	v_add_f32_e32 v34, v28, v11
	v_sub_f32_e32 v36, v28, v11
	v_add_f32_e32 v22, v22, v31
	v_sub_f32_e32 v28, v1, v28
	v_sub_f32_e32 v11, v11, v1
	v_add_f32_e32 v1, v34, v1
	v_add_f32_e32 v116, v37, v22
	v_mul_f32_e32 v0, 0x3f4a47b2, v0
	v_mul_f32_e32 v31, 0x3d64c772, v10
	;; [unrolled: 1-line block ×3, first 2 shown]
	v_fmamk_f32 v22, v22, 0xbf955555, v116
	v_fma_f32 v31, v33, s4, -v31
	v_fma_f32 v33, v33, s5, -v0
	v_fmac_f32_e32 v0, 0x3d64c772, v10
	v_fma_f32 v10, v11, s12, -v34
	v_mul_f32_e32 v36, 0x3f5ff5aa, v11
	v_fmac_f32_e32 v34, 0xbeae86e6, v28
	v_add_f32_e32 v11, v31, v22
	v_fmac_f32_e32 v10, 0xbee1c552, v1
	v_fmac_f32_e32 v36, 0x3eae86e6, v28
	v_add_f32_e32 v0, v0, v22
	v_fmac_f32_e32 v34, 0xbee1c552, v1
	v_sub_f32_e32 v119, v11, v10
	v_add_f32_e32 v120, v10, v11
	v_mov_b32_e32 v38, v27
	v_mov_b32_e32 v10, v5
	;; [unrolled: 1-line block ×3, first 2 shown]
	v_add_f32_e32 v22, v33, v22
	v_fmac_f32_e32 v36, 0xbee1c552, v1
	v_add_f32_e32 v117, v34, v0
	v_sub_f32_e32 v128, v0, v34
	v_mov_b32_e32 v34, v21
	v_mov_b32_e32 v0, v4
	;; [unrolled: 1-line block ×3, first 2 shown]
	v_pk_mul_f32 v[10:11], v[38:39], v[10:11]
	v_mul_f32_e32 v52, v111, v9
	v_add_f32_e32 v118, v36, v22
	v_sub_f32_e32 v124, v22, v36
	v_pk_fma_f32 v[36:37], v[34:35], v[0:1], v[10:11]
	s_waitcnt lgkmcnt(0)
	v_mov_b32_e32 v31, v29
	v_mov_b32_e32 v10, v7
	;; [unrolled: 1-line block ×3, first 2 shown]
	v_mul_f32_e32 v135, v69, v9
	v_fmac_f32_e32 v52, v69, v8
	v_mov_b32_e32 v33, v23
	v_mov_b32_e32 v0, v6
	;; [unrolled: 1-line block ×3, first 2 shown]
	v_pk_mul_f32 v[10:11], v[30:31], v[10:11]
	v_fma_f32 v69, v111, v8, -v135
	v_add_f32_e32 v22, v52, v90
	v_add_f32_e32 v42, v53, v87
	v_pk_fma_f32 v[40:41], v[32:33], v[0:1], v[10:11]
	v_sub_f32_e32 v0, v70, v89
	v_add_f32_e32 v10, v60, v72
	v_mov_b32_e32 v33, v35
	v_mov_b32_e32 v1, v8
	;; [unrolled: 1-line block ×3, first 2 shown]
	v_sub_f32_e32 v7, v86, v71
	v_sub_f32_e32 v28, v69, v91
	v_pk_mul_f32 v[8:9], v[32:33], v[8:9]
	v_add_f32_e32 v11, v42, v22
	v_sub_f32_e32 v31, v42, v22
	v_sub_f32_e32 v22, v22, v10
	v_sub_f32_e32 v32, v10, v42
	v_add_f32_e32 v33, v7, v0
	v_add_f32_e32 v10, v10, v11
	v_sub_f32_e32 v11, v7, v0
	v_sub_f32_e32 v7, v28, v7
	;; [unrolled: 1-line block ×3, first 2 shown]
	v_add_f32_e32 v28, v33, v28
	v_mul_f32_e32 v22, 0x3f4a47b2, v22
	v_mul_f32_e32 v33, 0x3d64c772, v32
	;; [unrolled: 1-line block ×3, first 2 shown]
	v_fma_f32 v33, v31, s4, -v33
	v_fma_f32 v31, v31, s5, -v22
	v_fmac_f32_e32 v22, 0x3d64c772, v32
	v_mul_f32_e32 v32, 0x3f5ff5aa, v0
	v_add_f32_e32 v24, v24, v10
	v_fma_f32 v0, v0, s12, -v11
	v_fmac_f32_e32 v11, 0xbeae86e6, v7
	v_fmac_f32_e32 v32, 0x3eae86e6, v7
	v_fmamk_f32 v7, v10, 0xbf955555, v24
	v_add_f32_e32 v10, v22, v7
	v_add_f32_e32 v22, v33, v7
	;; [unrolled: 1-line block ×3, first 2 shown]
	v_fmac_f32_e32 v0, 0xbee1c552, v28
	v_fmac_f32_e32 v32, 0xbee1c552, v28
	v_sub_f32_e32 v131, v22, v0
	v_add_f32_e32 v132, v0, v22
	v_add_f32_e32 v133, v32, v7
	v_sub_f32_e32 v32, v7, v32
	v_add_f32_e32 v7, v50, v68
	v_mov_b32_e32 v31, v39
	v_add_f32_e32 v22, v54, v66
	v_mov_b32_e32 v0, v6
	v_fmac_f32_e32 v11, 0xbee1c552, v28
	v_sub_f32_e32 v28, v57, v67
	v_pk_fma_f32 v[34:35], v[30:31], v[0:1], v[8:9] neg_lo:[0,0,1] neg_hi:[0,0,1]
	v_add_f32_e32 v6, v55, v59
	v_sub_f32_e32 v8, v51, v58
	v_mov_b32_e32 v0, v4
	v_add_f32_e32 v4, v22, v7
	v_add_f32_e32 v33, v11, v10
	v_sub_f32_e32 v10, v10, v11
	v_sub_f32_e32 v11, v56, v73
	v_mov_b32_e32 v1, v2
	v_mov_b32_e32 v2, v5
	v_sub_f32_e32 v5, v22, v7
	v_sub_f32_e32 v7, v7, v6
	v_sub_f32_e32 v9, v6, v22
	v_add_f32_e32 v22, v8, v28
	v_sub_f32_e32 v30, v8, v28
	v_add_f32_e32 v4, v6, v4
	v_sub_f32_e32 v8, v11, v8
	v_sub_f32_e32 v28, v28, v11
	v_add_f32_e32 v6, v22, v11
	v_add_f32_e32 v11, v25, v4
	v_mul_f32_e32 v7, 0x3f4a47b2, v7
	v_mul_f32_e32 v22, 0x3d64c772, v9
	v_mul_f32_e32 v25, 0x3f08b237, v30
	v_fma_f32 v22, v5, s4, -v22
	v_fma_f32 v5, v5, s5, -v7
	v_fmac_f32_e32 v7, 0x3d64c772, v9
	v_mul_f32_e32 v9, 0x3f5ff5aa, v28
	v_fmamk_f32 v4, v4, 0xbf955555, v11
	v_fma_f32 v28, v28, s12, -v25
	v_fmac_f32_e32 v25, 0xbeae86e6, v8
	v_fmac_f32_e32 v9, 0x3eae86e6, v8
	v_add_f32_e32 v8, v22, v4
	v_fmac_f32_e32 v28, 0xbee1c552, v6
	v_mov_b32_e32 v22, v21
	v_add_f32_e32 v7, v7, v4
	v_add_f32_e32 v4, v5, v4
	v_fmac_f32_e32 v25, 0xbee1c552, v6
	v_fmac_f32_e32 v9, 0xbee1c552, v6
	v_sub_f32_e32 v30, v8, v28
	v_add_f32_e32 v8, v28, v8
	v_pk_mul_f32 v[2:3], v[22:23], v[2:3]
	v_mov_b32_e32 v28, v27
	v_add_f32_e32 v31, v9, v4
	v_sub_f32_e32 v9, v4, v9
	v_add_f32_e32 v134, v25, v7
	v_sub_f32_e32 v25, v7, v25
	v_add_f32_e32 v4, v46, v49
	v_pk_add_f32 v[6:7], v[36:37], v[40:41]
	v_pk_fma_f32 v[38:39], v[28:29], v[0:1], v[2:3] neg_lo:[0,0,1] neg_hi:[0,0,1]
	v_add_f32_e32 v21, v4, v7
	v_mov_b32_e32 v5, v6
	v_pk_add_f32 v[0:1], v[34:35], v[38:39] neg_lo:[0,1] neg_hi:[0,1]
	v_sub_f32_e32 v22, v4, v7
	v_pk_add_f32 v[4:5], v[6:7], v[4:5] neg_lo:[0,1] neg_hi:[0,1]
	v_add_f32_e32 v21, v6, v21
	v_sub_f32_e32 v6, v48, v47
	v_mov_b32_e32 v7, v0
	v_add_f32_e32 v27, v0, v6
	v_pk_add_f32 v[2:3], v[0:1], v[6:7] neg_lo:[0,1] neg_hi:[0,1]
	v_add_f32_e32 v23, v83, v21
	v_pk_mul_f32 v[4:5], v[4:5], s[2:3]
	v_sub_f32_e32 v6, v6, v1
	v_add_f32_e32 v7, v27, v1
	v_pk_mul_f32 v[0:1], v[2:3], s[14:15]
	v_fmamk_f32 v2, v21, 0xbf955555, v23
	v_add_f32_e32 v3, v4, v5
	v_fma_f32 v4, v22, s4, -v4
	v_fma_f32 v5, v22, s5, -v5
	v_add_f32_e32 v21, v0, v1
	v_fma_f32 v1, v6, s13, -v1
	v_add_f32_e32 v3, v3, v2
	v_add_f32_e32 v4, v4, v2
	;; [unrolled: 1-line block ×3, first 2 shown]
	v_fmac_f32_e32 v1, 0xbee1c552, v7
	v_fma_f32 v0, v6, s12, -v0
	v_add_f32_e32 v6, v1, v2
	v_sub_f32_e32 v1, v2, v1
	v_lshrrev_b32_e32 v2, 2, v98
	v_mul_u32_u24_e32 v2, 28, v2
	v_or_b32_e32 v2, v2, v92
	v_lshl_add_u32 v83, v2, 2, 0
	v_lshrrev_b32_e32 v2, 2, v99
	v_mul_u32_u24_e32 v2, 28, v2
	v_or_b32_e32 v2, v2, v92
	v_lshl_add_u32 v129, v2, 2, 0
	;; [unrolled: 4-line block ×3, first 2 shown]
	v_lshrrev_b32_e32 v2, 2, v101
	v_mul_u32_u24_e32 v2, 28, v2
	v_or_b32_e32 v2, v2, v92
	ds_read2_b32 v[44:45], v105 offset1:56
	ds_read2_b32 v[42:43], v105 offset0:112 offset1:168
	s_waitcnt lgkmcnt(0)
	; wave barrier
	s_waitcnt lgkmcnt(0)
	ds_write2_b32 v83, v26, v108 offset1:4
	ds_write2_b32 v83, v109, v110 offset0:8 offset1:12
	ds_write2_b32 v83, v112, v20 offset0:16 offset1:20
	ds_write_b32 v83, v115 offset:96
	ds_write2_b32 v129, v116, v117 offset1:4
	ds_write2_b32 v129, v118, v119 offset0:8 offset1:12
	ds_write2_b32 v129, v120, v124 offset0:16 offset1:20
	ds_write_b32 v129, v128 offset:96
	;; [unrolled: 4-line block ×3, first 2 shown]
	v_lshl_add_u32 v131, v2, 2, 0
	v_lshrrev_b32_e32 v2, 2, v103
	v_mul_lo_u32 v2, v2, 28
	v_fmac_f32_e32 v21, 0xbee1c552, v7
	v_fmac_f32_e32 v0, 0xbee1c552, v7
	v_or_b32_e32 v2, v2, v92
	v_add_f32_e32 v5, v21, v3
	v_sub_f32_e32 v7, v4, v0
	v_add_f32_e32 v0, v0, v4
	v_lshl_add_u32 v132, v2, 2, 0
	v_sub_f32_e32 v111, v3, v21
	ds_write2_b32 v131, v11, v134 offset1:4
	ds_write2_b32 v131, v31, v30 offset0:8 offset1:12
	ds_write2_b32 v131, v8, v9 offset0:16 offset1:20
	ds_write_b32 v131, v25 offset:96
	ds_write2_b32 v132, v23, v5 offset1:4
	ds_write2_b32 v132, v6, v7 offset0:8 offset1:12
	ds_write2_b32 v132, v0, v1 offset0:16 offset1:20
	ds_write_b32 v132, v111 offset:96
	s_waitcnt lgkmcnt(0)
	; wave barrier
	s_waitcnt lgkmcnt(0)
	ds_read2_b32 v[30:31], v105 offset1:56
	ds_read2_b32 v[10:11], v82 offset0:84 offset1:140
	ds_read2_b32 v[26:27], v105 offset0:112 offset1:168
	;; [unrolled: 1-line block ×4, first 2 shown]
	v_lshl_add_u32 v109, v17, 2, 0
	v_add_u32_e32 v81, 0x600, v105
	v_add_u32_e32 v82, 0x900, v105
	;; [unrolled: 1-line block ×4, first 2 shown]
	v_lshl_add_u32 v108, v104, 2, 0
	ds_read2_b32 v[2:3], v80 offset0:36 offset1:92
	v_lshl_add_u32 v110, v96, 2, 0
	ds_read2_b32 v[6:7], v80 offset0:148 offset1:204
	ds_read2_b32 v[28:29], v81 offset0:120 offset1:176
	;; [unrolled: 1-line block ×4, first 2 shown]
	v_lshl_add_u32 v80, v128, 2, 0
	ds_read_b32 v118, v109
	ds_read_b32 v117, v110
	;; [unrolled: 1-line block ×3, first 2 shown]
	ds_read2_b32 v[20:21], v79 offset0:116 offset1:172
	v_lshl_add_u32 v79, v92, 2, 0
	ds_read_b32 v119, v107
	ds_read_b32 v116, v79
	v_add_u32_e32 v133, 0x1a00, v105
	ds_read2_b32 v[32:33], v78 offset0:72 offset1:128
	ds_read_b32 v120, v108
	ds_read_b32 v124, v106
	ds_read_b32 v112, v105 offset:7504
	ds_read2_b32 v[22:23], v133 offset0:100 offset1:156
	s_mov_b32 s13, 0x3eae86e6
	s_and_saveexec_b64 s[2:3], vcc
	s_cbranch_execz .LBB0_21
; %bb.20:
	ds_read_b32 v111, v105 offset:3808
	ds_read_b32 v16, v105 offset:7728
.LBB0_21:
	s_or_b64 exec, exec, s[2:3]
	v_add_f32_e32 v78, v123, v127
	v_sub_f32_e32 v65, v65, v88
	v_add_f32_e32 v88, v121, v126
	v_sub_f32_e32 v74, v74, v85
	v_add_f32_e32 v85, v122, v125
	v_sub_f32_e32 v76, v84, v76
	v_add_f32_e32 v84, v88, v78
	v_sub_f32_e32 v121, v88, v78
	v_sub_f32_e32 v78, v78, v85
	v_sub_f32_e32 v88, v85, v88
	v_add_f32_e32 v122, v76, v74
	v_sub_f32_e32 v123, v76, v74
	v_sub_f32_e32 v74, v74, v65
	v_add_f32_e32 v84, v85, v84
	v_sub_f32_e32 v76, v65, v76
	v_add_f32_e32 v65, v122, v65
	v_add_f32_e32 v44, v44, v84
	v_mul_f32_e32 v78, 0x3f4a47b2, v78
	v_mul_f32_e32 v85, 0x3d64c772, v88
	;; [unrolled: 1-line block ×4, first 2 shown]
	v_fmamk_f32 v84, v84, 0xbf955555, v44
	v_fma_f32 v85, v121, s4, -v85
	v_fma_f32 v121, v121, s5, -v78
	v_fmac_f32_e32 v78, 0x3d64c772, v88
	v_fma_f32 v74, v74, s12, -v122
	v_fmac_f32_e32 v122, 0xbeae86e6, v76
	v_fma_f32 v76, v76, s13, -v123
	v_add_f32_e32 v78, v78, v84
	v_add_f32_e32 v85, v85, v84
	;; [unrolled: 1-line block ×3, first 2 shown]
	v_fmac_f32_e32 v76, 0xbee1c552, v65
	v_sub_f32_e32 v88, v84, v76
	v_add_f32_e32 v76, v76, v84
	v_add_f32_e32 v84, v95, v114
	v_sub_f32_e32 v61, v61, v77
	v_add_f32_e32 v77, v93, v113
	v_fmac_f32_e32 v74, 0xbee1c552, v65
	v_sub_f32_e32 v62, v62, v75
	v_add_f32_e32 v75, v94, v97
	v_sub_f32_e32 v63, v64, v63
	v_add_f32_e32 v64, v77, v84
	v_add_f32_e32 v121, v74, v85
	v_sub_f32_e32 v74, v85, v74
	v_sub_f32_e32 v85, v77, v84
	;; [unrolled: 1-line block ×4, first 2 shown]
	v_add_f32_e32 v93, v63, v62
	v_sub_f32_e32 v94, v63, v62
	v_sub_f32_e32 v62, v62, v61
	v_add_f32_e32 v64, v75, v64
	v_sub_f32_e32 v63, v61, v63
	v_add_f32_e32 v61, v93, v61
	v_add_f32_e32 v45, v45, v64
	v_mul_f32_e32 v75, 0x3f4a47b2, v84
	v_mul_f32_e32 v84, 0x3d64c772, v77
	;; [unrolled: 1-line block ×4, first 2 shown]
	v_add_f32_e32 v47, v48, v47
	v_sub_f32_e32 v46, v46, v49
	v_sub_f32_e32 v36, v40, v36
	v_pk_add_f32 v[34:35], v[34:35], v[38:39]
	v_fmamk_f32 v64, v64, 0xbf955555, v45
	v_fma_f32 v84, v85, s4, -v84
	v_fma_f32 v85, v85, s5, -v75
	v_fmac_f32_e32 v75, 0x3d64c772, v77
	v_fma_f32 v62, v62, s12, -v93
	v_fmac_f32_e32 v93, 0xbeae86e6, v63
	v_fma_f32 v63, v63, s13, -v94
	v_add_f32_e32 v69, v69, v91
	v_add_f32_e32 v70, v70, v89
	;; [unrolled: 1-line block ×4, first 2 shown]
	v_sub_f32_e32 v37, v37, v41
	v_add_f32_e32 v40, v36, v46
	v_sub_f32_e32 v41, v36, v46
	v_add_f32_e32 v38, v47, v35
	v_add_f32_e32 v75, v75, v64
	;; [unrolled: 1-line block ×4, first 2 shown]
	v_fmac_f32_e32 v93, 0xbee1c552, v61
	v_fmac_f32_e32 v62, 0xbee1c552, v61
	;; [unrolled: 1-line block ×3, first 2 shown]
	v_sub_f32_e32 v52, v52, v90
	v_sub_f32_e32 v53, v53, v87
	v_add_f32_e32 v71, v71, v86
	v_sub_f32_e32 v60, v72, v60
	v_add_f32_e32 v72, v70, v69
	v_sub_f32_e32 v50, v50, v68
	v_sub_f32_e32 v54, v54, v66
	v_add_f32_e32 v51, v58, v51
	v_sub_f32_e32 v55, v59, v55
	v_add_f32_e32 v58, v57, v56
	v_sub_f32_e32 v36, v37, v36
	v_sub_f32_e32 v46, v46, v37
	v_add_f32_e32 v37, v40, v37
	v_mul_f32_e32 v40, 0x3f08b237, v41
	v_sub_f32_e32 v39, v47, v35
	v_sub_f32_e32 v35, v35, v34
	;; [unrolled: 1-line block ×3, first 2 shown]
	v_add_f32_e32 v34, v34, v38
	v_sub_f32_e32 v61, v75, v93
	v_sub_f32_e32 v84, v64, v63
	v_add_f32_e32 v85, v62, v77
	v_sub_f32_e32 v62, v77, v62
	v_add_f32_e32 v63, v63, v64
	v_add_f32_e32 v64, v93, v75
	v_sub_f32_e32 v75, v70, v69
	v_sub_f32_e32 v69, v69, v71
	v_sub_f32_e32 v70, v71, v70
	v_add_f32_e32 v77, v60, v53
	v_sub_f32_e32 v86, v60, v53
	v_sub_f32_e32 v53, v53, v52
	v_add_f32_e32 v71, v71, v72
	v_sub_f32_e32 v59, v57, v56
	v_sub_f32_e32 v56, v56, v51
	;; [unrolled: 1-line block ×3, first 2 shown]
	v_add_f32_e32 v66, v55, v54
	v_sub_f32_e32 v67, v55, v54
	v_sub_f32_e32 v54, v54, v50
	v_add_f32_e32 v51, v51, v58
	v_add_f32_e32 v38, v18, v34
	v_mul_f32_e32 v18, 0x3f4a47b2, v35
	v_mul_f32_e32 v35, 0x3d64c772, v41
	;; [unrolled: 1-line block ×3, first 2 shown]
	v_sub_f32_e32 v60, v52, v60
	v_add_f32_e32 v52, v77, v52
	v_add_f32_e32 v42, v42, v71
	v_mul_f32_e32 v69, 0x3f4a47b2, v69
	v_mul_f32_e32 v72, 0x3d64c772, v70
	;; [unrolled: 1-line block ×4, first 2 shown]
	v_sub_f32_e32 v55, v50, v55
	v_add_f32_e32 v50, v66, v50
	v_add_f32_e32 v43, v43, v51
	v_mul_f32_e32 v56, 0x3f4a47b2, v56
	v_mul_f32_e32 v58, 0x3d64c772, v57
	;; [unrolled: 1-line block ×4, first 2 shown]
	v_fmamk_f32 v34, v34, 0xbf955555, v38
	v_fma_f32 v35, v39, s4, -v35
	v_fma_f32 v39, v39, s5, -v18
	v_fmac_f32_e32 v18, 0x3d64c772, v41
	v_fma_f32 v41, v46, s12, -v40
	v_fmac_f32_e32 v40, 0xbeae86e6, v36
	;; [unrolled: 2-line block ×3, first 2 shown]
	v_fmamk_f32 v71, v71, 0xbf955555, v42
	v_fma_f32 v72, v75, s4, -v72
	v_fma_f32 v75, v75, s5, -v69
	v_fmac_f32_e32 v69, 0x3d64c772, v70
	v_fma_f32 v53, v53, s12, -v77
	v_fmac_f32_e32 v77, 0xbeae86e6, v60
	v_fma_f32 v60, v60, s13, -v86
	v_fmamk_f32 v51, v51, 0xbf955555, v43
	v_fma_f32 v58, v59, s4, -v58
	v_fma_f32 v59, v59, s5, -v56
	v_fmac_f32_e32 v56, 0x3d64c772, v57
	v_fma_f32 v54, v54, s12, -v66
	v_fmac_f32_e32 v66, 0xbeae86e6, v55
	v_fma_f32 v55, v55, s13, -v67
	v_add_f32_e32 v18, v18, v34
	v_add_f32_e32 v35, v35, v34
	;; [unrolled: 1-line block ×3, first 2 shown]
	v_fmac_f32_e32 v36, 0xbee1c552, v37
	v_sub_f32_e32 v65, v78, v122
	v_add_f32_e32 v69, v69, v71
	v_add_f32_e32 v70, v72, v71
	;; [unrolled: 1-line block ×3, first 2 shown]
	v_fmac_f32_e32 v77, 0xbee1c552, v52
	v_fmac_f32_e32 v53, 0xbee1c552, v52
	v_fmac_f32_e32 v60, 0xbee1c552, v52
	v_add_f32_e32 v56, v56, v51
	v_add_f32_e32 v57, v58, v51
	;; [unrolled: 1-line block ×3, first 2 shown]
	v_fmac_f32_e32 v66, 0xbee1c552, v50
	v_fmac_f32_e32 v54, 0xbee1c552, v50
	;; [unrolled: 1-line block ×5, first 2 shown]
	v_sub_f32_e32 v39, v34, v36
	v_add_f32_e32 v34, v36, v34
	v_add_f32_e32 v78, v122, v78
	v_sub_f32_e32 v52, v69, v77
	v_sub_f32_e32 v72, v71, v60
	v_add_f32_e32 v75, v53, v70
	v_sub_f32_e32 v53, v70, v53
	v_add_f32_e32 v60, v60, v71
	v_add_f32_e32 v69, v77, v69
	v_sub_f32_e32 v50, v56, v66
	v_sub_f32_e32 v58, v51, v55
	v_add_f32_e32 v59, v54, v57
	v_sub_f32_e32 v54, v57, v54
	v_add_f32_e32 v51, v55, v51
	v_add_f32_e32 v55, v66, v56
	v_sub_f32_e32 v37, v18, v40
	v_add_f32_e32 v46, v41, v35
	v_sub_f32_e32 v35, v35, v41
	v_add_f32_e32 v18, v40, v18
	s_waitcnt lgkmcnt(0)
	; wave barrier
	s_waitcnt lgkmcnt(0)
	ds_write2_b32 v83, v44, v65 offset1:4
	ds_write2_b32 v83, v88, v121 offset0:8 offset1:12
	ds_write2_b32 v83, v74, v76 offset0:16 offset1:20
	ds_write_b32 v83, v78 offset:96
	ds_write2_b32 v129, v45, v61 offset1:4
	ds_write2_b32 v129, v84, v85 offset0:8 offset1:12
	ds_write2_b32 v129, v62, v63 offset0:16 offset1:20
	ds_write_b32 v129, v64 offset:96
	;; [unrolled: 4-line block ×5, first 2 shown]
	v_add_u32_e32 v34, 0xe00, v105
	s_waitcnt lgkmcnt(0)
	; wave barrier
	s_waitcnt lgkmcnt(0)
	ds_read2_b32 v[42:43], v105 offset1:56
	ds_read2_b32 v[58:59], v34 offset0:84 offset1:140
	ds_read2_b32 v[40:41], v105 offset0:112 offset1:168
	v_add_u32_e32 v34, 0x1000, v105
	ds_read2_b32 v[56:57], v34 offset0:68 offset1:124
	ds_read2_b32 v[50:51], v34 offset0:180 offset1:236
	v_add_u32_e32 v34, 0x1400, v105
	v_add_u32_e32 v38, 0x1800, v105
	ds_read2_b32 v[52:53], v34 offset0:36 offset1:92
	ds_read2_b32 v[46:47], v34 offset0:148 offset1:204
	;; [unrolled: 1-line block ×5, first 2 shown]
	ds_read_b32 v123, v108
	ds_read_b32 v122, v109
	;; [unrolled: 1-line block ×4, first 2 shown]
	ds_read2_b32 v[54:55], v38 offset0:116 offset1:172
	ds_read_b32 v125, v107
	ds_read_b32 v114, v79
	ds_read2_b32 v[48:49], v133 offset0:100 offset1:156
	v_add_u32_e32 v38, 0xc00, v105
	ds_read2_b32 v[38:39], v38 offset0:72 offset1:128
	ds_read_b32 v126, v106
	ds_read_b32 v127, v105 offset:7504
	s_and_saveexec_b64 s[2:3], vcc
	s_cbranch_execz .LBB0_23
; %bb.22:
	ds_read_b32 v18, v105 offset:3808
	ds_read_b32 v19, v105 offset:7728
.LBB0_23:
	s_or_b64 exec, exec, s[2:3]
	v_subrev_u32_e32 v60, 28, v98
	v_cndmask_b32_e32 v76, v60, v98, vcc
	v_lshrrev_b16_e32 v60, 2, v99
	v_lshrrev_b16_e32 v62, 2, v100
	v_mov_b32_e32 v77, 0
	v_and_b32_e32 v60, 63, v60
	v_and_b32_e32 v62, 63, v62
	v_lshl_add_u64 v[68:69], v[76:77], 3, s[8:9]
	v_mul_lo_u16_e32 v77, 37, v60
	v_mov_b32_e32 v60, 28
	v_mul_lo_u16_e32 v130, 37, v62
	v_mul_lo_u16_sdwa v62, v130, v60 dst_sel:DWORD dst_unused:UNUSED_PAD src0_sel:BYTE_1 src1_sel:DWORD
	v_sub_u16_e32 v131, v100, v62
	v_lshrrev_b16_e32 v62, 2, v101
	v_and_b32_e32 v62, 63, v62
	v_mul_lo_u16_e32 v132, 37, v62
	v_mul_lo_u16_sdwa v61, v77, v60 dst_sel:DWORD dst_unused:UNUSED_PAD src0_sel:BYTE_1 src1_sel:DWORD
	v_mul_lo_u16_sdwa v60, v132, v60 dst_sel:DWORD dst_unused:UNUSED_PAD src0_sel:BYTE_1 src1_sel:DWORD
	v_sub_u16_e32 v129, v99, v61
	v_mov_b32_e32 v61, 3
	v_sub_u16_e32 v133, v101, v60
	v_lshlrev_b32_sdwa v70, v61, v129 dst_sel:DWORD dst_unused:UNUSED_PAD src0_sel:DWORD src1_sel:BYTE_0
	v_lshlrev_b32_sdwa v71, v61, v131 dst_sel:DWORD dst_unused:UNUSED_PAD src0_sel:DWORD src1_sel:BYTE_0
	;; [unrolled: 1-line block ×3, first 2 shown]
	global_load_dwordx2 v[66:67], v[68:69], off offset:192
	global_load_dwordx2 v[64:65], v70, s[8:9] offset:192
	global_load_dwordx2 v[62:63], v71, s[8:9] offset:192
	;; [unrolled: 1-line block ×3, first 2 shown]
	v_lshrrev_b16_e32 v68, 2, v103
	v_mul_u32_u24_e32 v68, 0x4925, v68
	v_lshrrev_b32_e32 v134, 17, v68
	v_mul_lo_u16_e32 v68, 28, v134
	v_sub_u16_e32 v135, v103, v68
	v_lshrrev_b16_e32 v68, 2, v102
	v_mul_u32_u24_e32 v68, 0x4925, v68
	v_lshrrev_b32_e32 v136, 17, v68
	v_mul_lo_u16_e32 v68, 28, v136
	v_sub_u16_e32 v137, v102, v68
	v_lshrrev_b16_e32 v68, 2, v104
	v_add_u32_e32 v78, 0x1f8, v98
	v_mul_u32_u24_e32 v68, 0x4925, v68
	v_lshrrev_b32_e32 v138, 17, v68
	v_lshrrev_b16_e32 v81, 2, v78
	v_mul_lo_u16_e32 v68, 28, v138
	v_mul_u32_u24_e32 v81, 0x4925, v81
	v_sub_u16_e32 v139, v104, v68
	v_lshrrev_b16_e32 v68, 2, v17
	v_lshrrev_b32_e32 v144, 17, v81
	v_add_u32_e32 v80, 0x230, v98
	v_mul_u32_u24_e32 v68, 0x4925, v68
	v_mul_lo_u16_e32 v81, 28, v144
	v_lshrrev_b32_e32 v140, 17, v68
	v_sub_u16_e32 v145, v78, v81
	v_lshrrev_b16_e32 v81, 2, v80
	v_mul_lo_u16_e32 v68, 28, v140
	v_mul_u32_u24_e32 v81, 0x4925, v81
	v_sub_u16_e32 v141, v17, v68
	v_lshrrev_b32_e32 v146, 17, v81
	v_add_u32_e32 v79, 0x268, v98
	v_lshlrev_b32_e32 v70, 3, v135
	v_lshlrev_b32_e32 v71, 3, v137
	;; [unrolled: 1-line block ×4, first 2 shown]
	v_mul_lo_u16_e32 v81, 28, v146
	global_load_dwordx2 v[72:73], v70, s[8:9] offset:192
	global_load_dwordx2 v[68:69], v71, s[8:9] offset:192
                                        ; kill: killed $vgpr70
                                        ; kill: killed $vgpr71
	s_nop 0
	global_load_dwordx2 v[74:75], v74, s[8:9] offset:192
	s_nop 0
	global_load_dwordx2 v[70:71], v17, s[8:9] offset:192
	v_lshrrev_b16_e32 v17, 2, v96
	v_sub_u16_e32 v147, v80, v81
	v_lshrrev_b16_e32 v81, 2, v79
	v_mul_u32_u24_e32 v17, 0x4925, v17
	v_mul_u32_u24_e32 v81, 0x4925, v81
	v_lshrrev_b32_e32 v142, 17, v17
	v_lshrrev_b32_e32 v148, 17, v81
	v_mul_lo_u16_e32 v17, 28, v142
	v_mul_lo_u16_e32 v81, 28, v148
	v_sub_u16_e32 v143, v96, v17
	v_sub_u16_e32 v149, v79, v81
	v_add_u32_e32 v88, 0x310, v98
	v_lshlrev_b32_e32 v17, 3, v143
	v_lshlrev_b32_e32 v80, 3, v147
	v_lshlrev_b32_e32 v79, 3, v149
	v_lshlrev_b32_e32 v78, 3, v145
	global_load_dwordx2 v[86:87], v17, s[8:9] offset:192
	global_load_dwordx2 v[84:85], v78, s[8:9] offset:192
	;; [unrolled: 1-line block ×3, first 2 shown]
	s_nop 0
	global_load_dwordx2 v[80:81], v79, s[8:9] offset:192
	v_lshrrev_b16_e32 v17, 2, v128
	v_lshrrev_b16_e32 v79, 2, v88
	v_mul_u32_u24_e32 v17, 0x4925, v17
	v_mul_u32_u24_e32 v79, 0x4925, v79
	v_lshrrev_b32_e32 v150, 17, v17
	v_lshrrev_b32_e32 v154, 17, v79
	v_add_u32_e32 v93, 0x348, v98
	v_mul_lo_u16_e32 v17, 28, v150
	v_mul_lo_u16_e32 v79, 28, v154
	v_sub_u16_e32 v151, v128, v17
	v_sub_u16_e32 v155, v88, v79
	v_lshrrev_b16_e32 v88, 2, v93
	v_lshlrev_b32_e32 v17, 3, v151
	v_mul_u32_u24_e32 v88, 0x4925, v88
	v_lshrrev_b32_e32 v156, 17, v88
	global_load_dwordx2 v[88:89], v17, s[8:9] offset:192
	v_lshrrev_b16_e32 v78, 2, v92
	v_mul_u32_u24_e32 v78, 0x4925, v78
	v_lshrrev_b32_e32 v152, 17, v78
	v_mul_lo_u16_e32 v78, 28, v152
	v_sub_u16_e32 v153, v92, v78
	v_lshlrev_b32_e32 v78, 3, v153
	global_load_dwordx2 v[90:91], v78, s[8:9] offset:192
	v_mul_lo_u16_e32 v17, 28, v156
	v_sub_u16_e32 v157, v93, v17
	v_lshlrev_b32_e32 v79, 3, v155
	v_lshlrev_b32_e32 v17, 3, v157
	global_load_dwordx2 v[92:93], v79, s[8:9] offset:192
	global_load_dwordx2 v[94:95], v17, s[8:9] offset:192
	v_or_b32_e32 v17, 0x380, v98
	v_lshrrev_b16_e32 v78, 2, v17
	v_mul_u32_u24_e32 v78, 0x4925, v78
	v_lshrrev_b32_e32 v158, 17, v78
	v_mul_lo_u16_e32 v78, 28, v158
	v_sub_u16_e32 v159, v17, v78
	v_add_u16_e32 v78, 0x3b8, v98
	v_lshrrev_b16_e32 v79, 2, v78
	v_lshlrev_b32_e32 v17, 3, v159
	v_mul_u32_u24_e32 v79, 0x4925, v79
	global_load_dwordx2 v[96:97], v17, s[8:9] offset:192
	v_lshrrev_b32_e32 v79, 17, v79
	v_mul_lo_u16_e32 v79, 28, v79
	v_sub_u16_e32 v174, v78, v79
	v_lshlrev_b32_e32 v78, 3, v174
	global_load_dwordx2 v[78:79], v78, s[8:9] offset:192
	s_waitcnt vmcnt(17) lgkmcnt(14)
	v_mul_f32_e32 v17, v58, v67
	v_fmac_f32_e32 v17, v10, v66
	v_sub_f32_e32 v176, v30, v17
	v_mov_b32_e32 v17, 0xe0
	v_cmp_lt_u32_e64 s[2:3], 27, v98
	s_waitcnt vmcnt(16)
	v_mul_f32_e32 v128, v59, v65
	v_lshlrev_b32_e32 v76, 2, v76
	v_cndmask_b32_e64 v17, 0, v17, s[2:3]
	v_fmac_f32_e32 v128, v11, v64
	v_fma_f32 v30, v30, 2.0, -v176
	s_movk_i32 s4, 0xe0
	v_add3_u32 v17, 0, v17, v76
	s_waitcnt vmcnt(15)
	v_mul_f32_e32 v160, v56, v63
	v_sub_f32_e32 v128, v31, v128
	s_waitcnt lgkmcnt(0)
	; wave barrier
	s_waitcnt lgkmcnt(0)
	ds_write2_b32 v17, v30, v176 offset1:28
	v_mul_u32_u24_sdwa v30, v77, s4 dst_sel:DWORD dst_unused:UNUSED_PAD src0_sel:BYTE_1 src1_sel:DWORD
	v_fmac_f32_e32 v160, v8, v62
	v_fma_f32 v31, v31, 2.0, -v128
	v_sub_f32_e32 v160, v26, v160
	s_waitcnt vmcnt(14)
	v_mul_f32_e32 v161, v57, v61
	v_fma_f32 v26, v26, 2.0, -v160
	v_fmac_f32_e32 v161, v9, v60
	s_mov_b32 s2, 0x5040100
	v_sub_f32_e32 v161, v27, v161
	v_fma_f32 v27, v27, 2.0, -v161
	s_waitcnt vmcnt(13)
	v_mul_f32_e32 v162, v50, v73
	s_waitcnt vmcnt(12)
	v_mul_f32_e32 v163, v51, v69
	;; [unrolled: 2-line block ×3, first 2 shown]
	v_fmac_f32_e32 v162, v0, v72
	s_waitcnt vmcnt(9)
	v_mul_f32_e32 v166, v46, v87
	v_fmac_f32_e32 v166, v6, v86
	v_sub_f32_e32 v166, v117, v166
	v_fma_f32 v178, v117, 2.0, -v166
	v_fmac_f32_e32 v163, v1, v68
	v_fmac_f32_e32 v165, v3, v70
	v_sub_f32_e32 v162, v124, v162
	v_sub_f32_e32 v163, v119, v163
	;; [unrolled: 1-line block ×3, first 2 shown]
	v_mul_f32_e32 v164, v52, v75
	v_fma_f32 v124, v124, 2.0, -v162
	v_fma_f32 v119, v119, 2.0, -v163
	;; [unrolled: 1-line block ×3, first 2 shown]
	v_fmac_f32_e32 v164, v2, v74
	v_sub_f32_e32 v164, v120, v164
	s_waitcnt vmcnt(8)
	v_mul_f32_e32 v167, v47, v85
	v_fma_f32 v120, v120, 2.0, -v164
	v_fmac_f32_e32 v167, v7, v84
	v_sub_f32_e32 v167, v28, v167
	s_waitcnt vmcnt(5)
	v_mul_f32_e32 v170, v54, v89
	v_fmac_f32_e32 v170, v20, v88
	v_sub_f32_e32 v170, v115, v170
	v_fma_f32 v179, v115, 2.0, -v170
	v_mov_b32_e32 v115, 2
	v_lshlrev_b32_sdwa v76, v115, v129 dst_sel:DWORD dst_unused:UNUSED_PAD src0_sel:DWORD src1_sel:BYTE_0
	v_add3_u32 v76, 0, v30, v76
	ds_write2_b32 v76, v31, v128 offset1:28
	v_mul_u32_u24_sdwa v30, v130, s4 dst_sel:DWORD dst_unused:UNUSED_PAD src0_sel:BYTE_1 src1_sel:DWORD
	v_lshlrev_b32_sdwa v31, v115, v131 dst_sel:DWORD dst_unused:UNUSED_PAD src0_sel:DWORD src1_sel:BYTE_0
	v_add3_u32 v77, 0, v30, v31
	ds_write2_b32 v77, v26, v160 offset1:28
	v_mul_u32_u24_sdwa v26, v132, s4 dst_sel:DWORD dst_unused:UNUSED_PAD src0_sel:BYTE_1 src1_sel:DWORD
	v_lshlrev_b32_sdwa v30, v115, v133 dst_sel:DWORD dst_unused:UNUSED_PAD src0_sel:DWORD src1_sel:BYTE_0
	s_waitcnt vmcnt(4)
	v_mul_f32_e32 v171, v55, v91
	v_add3_u32 v115, 0, v26, v30
	v_perm_b32 v26, v136, v134, s2
	v_fmac_f32_e32 v171, v21, v90
	v_pk_mul_lo_u16 v26, v26, s4 op_sel_hi:[1,0]
	v_sub_f32_e32 v171, v116, v171
	ds_write2_b32 v115, v27, v161 offset1:28
	v_and_b32_e32 v27, 0xffe0, v26
	v_lshlrev_b32_e32 v30, 2, v135
	v_fma_f32 v180, v116, 2.0, -v171
	v_add3_u32 v116, 0, v27, v30
	v_lshrrev_b32_e32 v26, 16, v26
	v_lshlrev_b32_e32 v27, 2, v137
	v_add3_u32 v117, 0, v26, v27
	v_perm_b32 v26, v140, v138, s2
	v_pk_mul_lo_u16 v26, v26, s4 op_sel_hi:[1,0]
	v_lshlrev_b32_e32 v30, 2, v139
	v_and_b32_e32 v27, 0xffe0, v26
	v_add3_u32 v118, 0, v27, v30
	v_lshrrev_b32_e32 v26, 16, v26
	v_lshlrev_b32_e32 v27, 2, v141
	ds_write2_b32 v116, v124, v162 offset1:28
	ds_write2_b32 v117, v119, v163 offset1:28
	v_add3_u32 v119, 0, v26, v27
	v_perm_b32 v26, v144, v142, s2
	v_pk_mul_lo_u16 v26, v26, s4 op_sel_hi:[1,0]
	v_lshlrev_b32_e32 v30, 2, v143
	v_and_b32_e32 v27, 0xffe0, v26
	ds_write2_b32 v118, v120, v164 offset1:28
	v_add3_u32 v120, 0, v27, v30
	v_lshrrev_b32_e32 v26, 16, v26
	v_lshlrev_b32_e32 v27, 2, v145
	v_add3_u32 v124, 0, v26, v27
	v_perm_b32 v26, v148, v146, s2
	v_mul_f32_e32 v168, v44, v83
	v_mul_f32_e32 v169, v45, v81
	v_fma_f32 v28, v28, 2.0, -v167
	v_pk_mul_lo_u16 v26, v26, s4 op_sel_hi:[1,0]
	v_fmac_f32_e32 v168, v4, v82
	v_fmac_f32_e32 v169, v5, v80
	ds_write2_b32 v119, v177, v165 offset1:28
	ds_write2_b32 v120, v178, v166 offset1:28
	;; [unrolled: 1-line block ×3, first 2 shown]
	v_and_b32_e32 v27, 0xffe0, v26
	v_lshlrev_b32_e32 v28, 2, v147
	v_sub_f32_e32 v168, v29, v168
	v_sub_f32_e32 v169, v24, v169
	v_add3_u32 v128, 0, v27, v28
	v_lshrrev_b32_e32 v26, 16, v26
	v_lshlrev_b32_e32 v27, 2, v149
	v_fma_f32 v29, v29, 2.0, -v168
	v_fma_f32 v24, v24, 2.0, -v169
	v_add3_u32 v129, 0, v26, v27
	ds_write2_b32 v128, v29, v168 offset1:28
	ds_write2_b32 v129, v24, v169 offset1:28
	v_perm_b32 v24, v152, v150, s2
	v_pk_mul_lo_u16 v24, v24, s4 op_sel_hi:[1,0]
	v_lshlrev_b32_e32 v27, 2, v151
	v_and_b32_e32 v26, 0xffe0, v24
	v_add3_u32 v130, 0, v26, v27
	v_lshrrev_b32_e32 v24, 16, v24
	v_lshlrev_b32_e32 v26, 2, v153
	s_waitcnt vmcnt(3)
	v_mul_f32_e32 v172, v48, v93
	v_add3_u32 v131, 0, v24, v26
	v_perm_b32 v24, v156, v154, s2
	v_fmac_f32_e32 v172, v22, v92
	v_pk_mul_lo_u16 v24, v24, s4 op_sel_hi:[1,0]
	v_sub_f32_e32 v172, v25, v172
	v_and_b32_e32 v26, 0xffe0, v24
	v_lshlrev_b32_e32 v27, 2, v155
	s_waitcnt vmcnt(2)
	v_mul_f32_e32 v173, v49, v95
	s_waitcnt vmcnt(1)
	v_mul_f32_e32 v175, v127, v97
	v_fma_f32 v25, v25, 2.0, -v172
	v_add3_u32 v133, 0, v26, v27
	v_fmac_f32_e32 v173, v23, v94
	v_fmac_f32_e32 v175, v112, v96
	ds_write2_b32 v130, v179, v170 offset1:28
	ds_write2_b32 v131, v180, v171 offset1:28
	;; [unrolled: 1-line block ×3, first 2 shown]
	v_lshrrev_b32_e32 v24, 16, v24
	v_lshlrev_b32_e32 v25, 2, v157
	v_sub_f32_e32 v173, v32, v173
	v_sub_f32_e32 v175, v33, v175
	v_add3_u32 v134, 0, v24, v25
	v_mul_u32_u24_e32 v24, 0xe0, v158
	v_lshlrev_b32_e32 v25, 2, v159
	v_fma_f32 v32, v32, 2.0, -v173
	v_fma_f32 v33, v33, 2.0, -v175
	v_add3_u32 v135, 0, v24, v25
	v_lshl_add_u32 v132, v174, 2, 0
	ds_write2_b32 v134, v32, v173 offset1:28
	ds_write2_b32 v135, v33, v175 offset1:28
	s_and_saveexec_b64 s[2:3], vcc
	s_cbranch_execz .LBB0_25
; %bb.24:
	s_waitcnt vmcnt(0)
	v_mul_f32_e32 v24, v19, v79
	v_fmac_f32_e32 v24, v16, v78
	v_sub_f32_e32 v24, v111, v24
	v_fma_f32 v25, v111, 2.0, -v24
	v_add_u32_e32 v26, 0x1c00, v132
	ds_write2_b32 v26, v25, v24 offset0:112 offset1:140
.LBB0_25:
	s_or_b64 exec, exec, s[2:3]
	v_mul_f32_e32 v10, v10, v67
	v_mul_f32_e32 v11, v11, v65
	v_mul_f32_e32 v8, v8, v63
	v_mul_f32_e32 v9, v9, v61
	v_mul_f32_e32 v7, v7, v85
	v_mul_f32_e32 v4, v4, v83
	v_mul_f32_e32 v5, v5, v81
	v_mul_f32_e32 v22, v22, v93
	v_mul_f32_e32 v23, v23, v95
	v_mul_f32_e32 v24, v112, v97
	v_fma_f32 v10, v58, v66, -v10
	v_fma_f32 v11, v59, v64, -v11
	;; [unrolled: 1-line block ×4, first 2 shown]
	v_mul_f32_e32 v0, v0, v73
	v_mul_f32_e32 v1, v1, v69
	;; [unrolled: 1-line block ×4, first 2 shown]
	v_fma_f32 v7, v47, v84, -v7
	v_fma_f32 v4, v44, v82, -v4
	;; [unrolled: 1-line block ×3, first 2 shown]
	v_mul_f32_e32 v20, v20, v89
	v_mul_f32_e32 v21, v21, v91
	v_fma_f32 v22, v48, v92, -v22
	v_fma_f32 v23, v49, v94, -v23
	;; [unrolled: 1-line block ×6, first 2 shown]
	v_mul_f32_e32 v3, v3, v71
	v_fma_f32 v6, v46, v86, -v6
	v_fma_f32 v20, v54, v88, -v20
	;; [unrolled: 1-line block ×3, first 2 shown]
	v_sub_f32_e32 v54, v42, v10
	v_sub_f32_e32 v56, v43, v11
	;; [unrolled: 1-line block ×10, first 2 shown]
	v_add_u32_e32 v44, 0x800, v105
	v_add_u32_e32 v47, 0xc00, v105
	v_add_u32_e32 v50, 0x1000, v105
	v_add_u32_e32 v46, 0x1400, v105
	v_add_u32_e32 v49, 0x1800, v105
	v_add_u32_e32 v45, 0x400, v105
	v_add_u32_e32 v51, 0x1200, v105
	v_add_u32_e32 v48, 0x1c00, v105
	v_add_u32_e32 v52, 0xe00, v105
	v_fma_f32 v3, v53, v70, -v3
	v_fma_f32 v55, v42, 2.0, -v54
	v_fma_f32 v57, v43, 2.0, -v56
	;; [unrolled: 1-line block ×4, first 2 shown]
	v_sub_f32_e32 v64, v126, v0
	v_sub_f32_e32 v66, v125, v1
	v_fma_f32 v71, v36, 2.0, -v7
	v_fma_f32 v73, v37, 2.0, -v72
	;; [unrolled: 1-line block ×3, first 2 shown]
	v_sub_f32_e32 v80, v113, v20
	v_sub_f32_e32 v82, v114, v21
	v_fma_f32 v85, v35, 2.0, -v84
	v_fma_f32 v87, v38, 2.0, -v86
	;; [unrolled: 1-line block ×3, first 2 shown]
	s_waitcnt lgkmcnt(0)
	; wave barrier
	s_waitcnt lgkmcnt(0)
	ds_read2_b32 v[4:5], v105 offset1:56
	ds_read2_b32 v[42:43], v44 offset0:48 offset1:104
	ds_read2_b32 v[10:11], v47 offset0:16 offset1:72
	;; [unrolled: 1-line block ×11, first 2 shown]
	ds_read2_b32 v[26:27], v48 offset1:56
	ds_read2_b32 v[24:25], v45 offset0:192 offset1:248
	ds_read2_b32 v[22:23], v52 offset0:112 offset1:168
	;; [unrolled: 1-line block ×3, first 2 shown]
	ds_read_b32 v59, v107
	ds_read_b32 v53, v106
	ds_read_b32 v58, v105 offset:7616
	v_sub_f32_e32 v2, v123, v2
	v_sub_f32_e32 v3, v122, v3
	;; [unrolled: 1-line block ×3, first 2 shown]
	v_fma_f32 v65, v126, 2.0, -v64
	v_fma_f32 v67, v125, 2.0, -v66
	;; [unrolled: 1-line block ×7, first 2 shown]
	s_waitcnt lgkmcnt(0)
	; wave barrier
	s_waitcnt lgkmcnt(0)
	ds_write2_b32 v17, v55, v54 offset1:28
	ds_write2_b32 v76, v57, v56 offset1:28
	;; [unrolled: 1-line block ×17, first 2 shown]
	s_and_saveexec_b64 s[2:3], vcc
	s_cbranch_execz .LBB0_27
; %bb.26:
	s_waitcnt vmcnt(0)
	v_mul_f32_e32 v2, v16, v79
	v_fma_f32 v2, v19, v78, -v2
	v_sub_f32_e32 v2, v18, v2
	v_fma_f32 v3, v18, 2.0, -v2
	v_add_u32_e32 v6, 0x1c00, v132
	ds_write2_b32 v6, v3, v2 offset0:112 offset1:140
.LBB0_27:
	s_or_b64 exec, exec, s[2:3]
	v_lshrrev_b16_e32 v54, 3, v100
	v_and_b32_e32 v54, 31, v54
	v_lshrrev_b16_e32 v57, 3, v101
	v_mov_b32_e32 v56, 56
	v_mul_lo_u16_e32 v54, 37, v54
	v_lshrrev_b16_e32 v84, 3, v103
	v_and_b32_e32 v57, 31, v57
	v_mul_lo_u16_sdwa v54, v54, v56 dst_sel:DWORD dst_unused:UNUSED_PAD src0_sel:BYTE_1 src1_sel:DWORD
	v_mul_u32_u24_e32 v84, 0x2493, v84
	v_mul_lo_u16_e32 v57, 37, v57
	v_mul_u32_u24_e32 v2, 6, v98
	v_sub_u16_e32 v54, v100, v54
	v_mul_lo_u16_sdwa v92, v84, v56 dst_sel:DWORD dst_unused:UNUSED_PAD src0_sel:WORD_1 src1_sel:DWORD
	v_mul_lo_u16_sdwa v56, v57, v56 dst_sel:DWORD dst_unused:UNUSED_PAD src0_sel:BYTE_1 src1_sel:DWORD
	v_lshlrev_b32_e32 v2, 3, v2
	v_and_b32_e32 v54, 0xff, v54
	v_sub_u16_e32 v56, v101, v56
	s_waitcnt lgkmcnt(0)
	; wave barrier
	s_waitcnt lgkmcnt(0)
	global_load_dwordx4 v[60:63], v2, s[8:9] offset:416
	global_load_dwordx4 v[64:67], v2, s[8:9] offset:432
	;; [unrolled: 1-line block ×3, first 2 shown]
	v_mul_u32_u24_e32 v55, 6, v54
	v_and_b32_e32 v57, 0xff, v56
	v_lshlrev_b32_e32 v55, 3, v55
	v_mul_u32_u24_e32 v56, 6, v57
	ds_read2_b32 v[6:7], v105 offset1:56
	ds_read2_b32 v[96:97], v44 offset0:48 offset1:104
	ds_read2_b32 v[18:19], v47 offset0:16 offset1:72
	;; [unrolled: 1-line block ×9, first 2 shown]
	global_load_dwordx4 v[72:75], v55, s[8:9] offset:416
	v_lshlrev_b32_e32 v116, 3, v56
	v_sub_u16_e32 v56, v103, v92
	ds_read2_b32 v[134:135], v44 offset0:160 offset1:216
	ds_read2_b32 v[136:137], v51 offset0:80 offset1:136
	ds_read2_b32 v[138:139], v48 offset1:56
	ds_read2_b32 v[140:141], v45 offset0:192 offset1:248
	ds_read2_b32 v[142:143], v52 offset0:112 offset1:168
	;; [unrolled: 1-line block ×3, first 2 shown]
	global_load_dwordx4 v[76:79], v55, s[8:9] offset:448
	global_load_dwordx4 v[80:83], v55, s[8:9] offset:432
	v_mul_u32_u24_e32 v92, 6, v56
	v_lshlrev_b32_e32 v120, 3, v92
	ds_read_b32 v111, v107
	ds_read_b32 v55, v106
	ds_read_b32 v146, v105 offset:7616
	global_load_dwordx4 v[84:87], v116, s[8:9] offset:432
	global_load_dwordx4 v[88:91], v116, s[8:9] offset:416
	;; [unrolled: 1-line block ×4, first 2 shown]
	s_nop 0
	global_load_dwordx4 v[116:119], v116, s[8:9] offset:448
	s_nop 0
	global_load_dwordx4 v[120:123], v120, s[8:9] offset:416
	s_mov_b32 s2, 0xbf5ff5aa
	s_mov_b32 s4, 0x3f3bfb3b
	s_mov_b32 s3, 0xbf3bfb3b
	s_mov_b32 s5, 0x3eae86e6
	s_waitcnt lgkmcnt(0)
	; wave barrier
	s_waitcnt vmcnt(11) lgkmcnt(0)
	v_mul_f32_e32 v159, v128, v61
	v_mul_f32_e32 v147, v111, v61
	;; [unrolled: 1-line block ×3, first 2 shown]
	s_waitcnt vmcnt(9)
	v_mul_f32_e32 v157, v126, v71
	v_fmac_f32_e32 v159, v36, v60
	v_mul_f32_e32 v36, v36, v61
	v_mul_f32_e32 v153, v124, v67
	;; [unrolled: 1-line block ×3, first 2 shown]
	v_fmac_f32_e32 v147, v59, v60
	v_fma_f32 v59, v111, v60, -v148
	v_fmac_f32_e32 v157, v38, v70
	v_fma_f32 v36, v128, v60, -v36
	v_mul_f32_e32 v38, v97, v63
	v_mul_f32_e32 v60, v125, v67
	;; [unrolled: 1-line block ×7, first 2 shown]
	v_fmac_f32_e32 v153, v40, v66
	v_fmac_f32_e32 v38, v43, v62
	v_mul_f32_e32 v40, v43, v63
	v_mul_f32_e32 v43, v130, v65
	v_fmac_f32_e32 v60, v41, v66
	v_mul_f32_e32 v41, v41, v67
	v_mul_f32_e32 v61, v132, v69
	s_waitcnt vmcnt(8)
	v_mul_f32_e32 v63, v129, v73
	s_waitcnt vmcnt(7)
	v_mul_f32_e32 v67, v133, v77
	v_mul_f32_e32 v155, v17, v69
	;; [unrolled: 1-line block ×3, first 2 shown]
	v_fmac_f32_e32 v149, v42, v62
	v_fma_f32 v42, v96, v62, -v150
	v_fmac_f32_e32 v151, v11, v64
	v_fma_f32 v11, v19, v64, -v152
	v_fma_f32 v19, v124, v66, -v154
	;; [unrolled: 1-line block ×3, first 2 shown]
	v_fmac_f32_e32 v43, v34, v64
	v_mul_f32_e32 v34, v34, v65
	v_fma_f32 v41, v125, v66, -v41
	v_fmac_f32_e32 v61, v32, v68
	v_mul_f32_e32 v32, v32, v69
	v_mul_f32_e32 v62, v127, v71
	v_fmac_f32_e32 v63, v37, v72
	v_mul_f32_e32 v37, v37, v73
	s_waitcnt vmcnt(6)
	v_mul_f32_e32 v65, v131, v81
	v_mul_f32_e32 v66, v136, v83
	v_fmac_f32_e32 v67, v33, v76
	v_mul_f32_e32 v33, v33, v77
	s_waitcnt vmcnt(2)
	v_mul_f32_e32 v77, v16, v115
	v_fmac_f32_e32 v155, v9, v68
	v_fma_f32 v9, v17, v68, -v156
	v_fma_f32 v17, v126, v70, -v158
	;; [unrolled: 1-line block ×3, first 2 shown]
	v_fmac_f32_e32 v62, v39, v70
	v_mul_f32_e32 v39, v39, v71
	v_fma_f32 v37, v129, v72, -v37
	v_fmac_f32_e32 v65, v35, v80
	v_mul_f32_e32 v35, v35, v81
	v_fmac_f32_e32 v66, v28, v82
	v_mul_f32_e32 v28, v28, v83
	v_mul_f32_e32 v68, v138, v79
	;; [unrolled: 1-line block ×4, first 2 shown]
	v_fmac_f32_e32 v77, v8, v114
	v_mul_f32_e32 v8, v8, v115
	v_fma_f32 v39, v127, v70, -v39
	v_fma_f32 v35, v131, v80, -v35
	;; [unrolled: 1-line block ×3, first 2 shown]
	v_fmac_f32_e32 v68, v26, v78
	v_mul_f32_e32 v26, v26, v79
	v_mul_f32_e32 v69, v140, v89
	;; [unrolled: 1-line block ×3, first 2 shown]
	v_fmac_f32_e32 v71, v22, v84
	v_mul_f32_e32 v22, v22, v85
	v_fmac_f32_e32 v72, v29, v86
	v_mul_f32_e32 v29, v29, v87
	v_fma_f32 v8, v16, v114, -v8
	v_mul_f32_e32 v16, v145, v93
	v_add_f32_e32 v79, v147, v157
	v_add_f32_e32 v80, v59, v17
	v_sub_f32_e32 v17, v59, v17
	v_add_f32_e32 v59, v149, v155
	v_add_f32_e32 v82, v42, v9
	v_fmac_f32_e32 v69, v24, v88
	v_mul_f32_e32 v24, v24, v89
	v_fmac_f32_e32 v70, v31, v90
	v_mul_f32_e32 v31, v31, v91
	v_fma_f32 v22, v142, v84, -v22
	v_fma_f32 v29, v137, v86, -v29
	v_fmac_f32_e32 v16, v21, v92
	v_mul_f32_e32 v21, v21, v93
	v_sub_f32_e32 v81, v147, v157
	v_sub_f32_e32 v83, v149, v155
	;; [unrolled: 1-line block ×3, first 2 shown]
	v_add_f32_e32 v42, v151, v153
	v_add_f32_e32 v84, v11, v19
	v_sub_f32_e32 v85, v153, v151
	v_sub_f32_e32 v11, v19, v11
	v_add_f32_e32 v19, v59, v79
	v_add_f32_e32 v86, v82, v80
	v_fma_f32 v24, v140, v88, -v24
	v_fma_f32 v31, v135, v90, -v31
	;; [unrolled: 1-line block ×3, first 2 shown]
	v_sub_f32_e32 v87, v59, v79
	v_sub_f32_e32 v88, v82, v80
	;; [unrolled: 1-line block ×6, first 2 shown]
	v_add_f32_e32 v89, v85, v83
	v_add_f32_e32 v90, v11, v9
	v_sub_f32_e32 v91, v85, v83
	v_sub_f32_e32 v92, v11, v9
	;; [unrolled: 1-line block ×4, first 2 shown]
	v_add_f32_e32 v19, v42, v19
	v_add_f32_e32 v42, v84, v86
	v_sub_f32_e32 v85, v81, v85
	v_sub_f32_e32 v11, v17, v11
	v_add_f32_e32 v81, v89, v81
	v_add_f32_e32 v17, v90, v17
	;; [unrolled: 1-line block ×4, first 2 shown]
	v_mul_f32_e32 v6, 0x3f4a47b2, v79
	v_mul_f32_e32 v79, 0x3f4a47b2, v80
	;; [unrolled: 1-line block ×8, first 2 shown]
	v_fmamk_f32 v19, v19, 0xbf955555, v4
	v_fmamk_f32 v42, v42, 0xbf955555, v9
	v_fma_f32 v80, v87, s4, -v80
	v_fma_f32 v84, v88, s4, -v84
	;; [unrolled: 1-line block ×3, first 2 shown]
	v_fmac_f32_e32 v6, 0x3d64c772, v59
	v_fma_f32 v59, v88, s3, -v79
	v_fmac_f32_e32 v79, 0x3d64c772, v82
	v_fma_f32 v82, v83, s2, -v86
	;; [unrolled: 2-line block ×4, first 2 shown]
	v_fma_f32 v11, v11, s5, -v91
	v_add_f32_e32 v6, v6, v19
	v_add_f32_e32 v79, v79, v42
	;; [unrolled: 1-line block ×6, first 2 shown]
	v_fmac_f32_e32 v82, 0xbee1c552, v81
	v_fmac_f32_e32 v83, 0xbee1c552, v17
	;; [unrolled: 1-line block ×4, first 2 shown]
	v_fma_f32 v34, v130, v64, -v34
	v_fmac_f32_e32 v86, 0xbee1c552, v81
	v_add_f32_e32 v81, v11, v19
	v_sub_f32_e32 v87, v42, v85
	v_sub_f32_e32 v88, v80, v83
	v_add_f32_e32 v90, v82, v84
	v_add_f32_e32 v80, v83, v80
	v_sub_f32_e32 v82, v84, v82
	v_sub_f32_e32 v11, v19, v11
	v_add_f32_e32 v83, v85, v42
	v_add_f32_e32 v19, v159, v62
	;; [unrolled: 1-line block ×3, first 2 shown]
	v_sub_f32_e32 v36, v36, v39
	v_add_f32_e32 v39, v38, v61
	v_add_f32_e32 v84, v40, v32
	v_fmac_f32_e32 v89, 0xbee1c552, v17
	v_sub_f32_e32 v62, v159, v62
	v_sub_f32_e32 v38, v38, v61
	;; [unrolled: 1-line block ×3, first 2 shown]
	v_add_f32_e32 v40, v43, v60
	v_add_f32_e32 v61, v34, v41
	v_sub_f32_e32 v43, v60, v43
	v_sub_f32_e32 v34, v41, v34
	v_add_f32_e32 v41, v39, v19
	v_add_f32_e32 v60, v84, v42
	;; [unrolled: 1-line block ×3, first 2 shown]
	v_sub_f32_e32 v59, v79, v86
	v_sub_f32_e32 v6, v6, v89
	v_add_f32_e32 v79, v86, v79
	v_sub_f32_e32 v85, v39, v19
	v_sub_f32_e32 v86, v84, v42
	;; [unrolled: 1-line block ×5, first 2 shown]
	v_add_f32_e32 v89, v43, v38
	v_add_f32_e32 v91, v34, v32
	v_sub_f32_e32 v92, v43, v38
	v_sub_f32_e32 v93, v34, v32
	;; [unrolled: 1-line block ×4, first 2 shown]
	v_add_f32_e32 v40, v40, v41
	v_add_f32_e32 v41, v61, v60
	v_mul_f32_e32 v64, v134, v75
	v_sub_f32_e32 v84, v61, v84
	v_sub_f32_e32 v43, v62, v43
	;; [unrolled: 1-line block ×3, first 2 shown]
	v_add_f32_e32 v60, v89, v62
	v_add_f32_e32 v36, v91, v36
	;; [unrolled: 1-line block ×4, first 2 shown]
	v_mul_f32_e32 v7, 0x3f4a47b2, v19
	v_mul_f32_e32 v19, 0x3f4a47b2, v42
	v_mul_f32_e32 v42, 0x3d64c772, v39
	v_mul_f32_e32 v89, 0x3f08b237, v92
	v_mul_f32_e32 v91, 0x3f08b237, v93
	v_mul_f32_e32 v92, 0xbf5ff5aa, v38
	v_mul_f32_e32 v93, 0xbf5ff5aa, v32
	v_fmac_f32_e32 v64, v30, v74
	v_mul_f32_e32 v30, v30, v75
	v_mul_f32_e32 v62, 0x3d64c772, v84
	v_fmamk_f32 v40, v40, 0xbf955555, v5
	v_fmamk_f32 v41, v41, 0xbf955555, v61
	v_fma_f32 v42, v85, s4, -v42
	v_fma_f32 v85, v85, s3, -v7
	v_fmac_f32_e32 v7, 0x3d64c772, v39
	v_fma_f32 v39, v86, s3, -v19
	v_fmac_f32_e32 v19, 0x3d64c772, v84
	;; [unrolled: 2-line block ×4, first 2 shown]
	v_fma_f32 v43, v43, s5, -v92
	v_fma_f32 v34, v34, s5, -v93
	v_fma_f32 v30, v134, v74, -v30
	v_fma_f32 v33, v133, v76, -v33
	v_fma_f32 v26, v138, v78, -v26
	v_fma_f32 v62, v86, s4, -v62
	v_add_f32_e32 v7, v7, v40
	v_add_f32_e32 v19, v19, v41
	;; [unrolled: 1-line block ×5, first 2 shown]
	v_fmac_f32_e32 v89, 0xbee1c552, v60
	v_fmac_f32_e32 v43, 0xbee1c552, v60
	;; [unrolled: 1-line block ×3, first 2 shown]
	v_add_f32_e32 v62, v62, v41
	v_fmac_f32_e32 v38, 0xbee1c552, v60
	v_fmac_f32_e32 v32, 0xbee1c552, v36
	v_sub_f32_e32 v60, v19, v89
	v_add_f32_e32 v41, v34, v40
	v_sub_f32_e32 v85, v39, v43
	v_sub_f32_e32 v34, v40, v34
	v_add_f32_e32 v39, v43, v39
	v_add_f32_e32 v89, v89, v19
	;; [unrolled: 1-line block ×4, first 2 shown]
	v_sub_f32_e32 v26, v37, v26
	v_add_f32_e32 v37, v64, v67
	v_add_f32_e32 v43, v30, v33
	v_fmac_f32_e32 v91, 0xbee1c552, v36
	v_sub_f32_e32 v84, v42, v32
	v_add_f32_e32 v86, v38, v62
	v_add_f32_e32 v32, v32, v42
	v_sub_f32_e32 v38, v62, v38
	v_sub_f32_e32 v42, v63, v68
	;; [unrolled: 1-line block ×4, first 2 shown]
	v_add_f32_e32 v33, v65, v66
	v_add_f32_e32 v63, v35, v28
	v_sub_f32_e32 v64, v66, v65
	v_sub_f32_e32 v28, v28, v35
	v_add_f32_e32 v35, v37, v19
	v_add_f32_e32 v65, v43, v40
	;; [unrolled: 1-line block ×3, first 2 shown]
	v_sub_f32_e32 v7, v7, v91
	v_sub_f32_e32 v66, v37, v19
	v_sub_f32_e32 v67, v43, v40
	v_sub_f32_e32 v19, v19, v33
	v_sub_f32_e32 v40, v40, v63
	v_sub_f32_e32 v37, v33, v37
	v_sub_f32_e32 v43, v63, v43
	v_add_f32_e32 v68, v64, v62
	v_add_f32_e32 v91, v28, v30
	v_sub_f32_e32 v92, v64, v62
	v_sub_f32_e32 v93, v28, v30
	;; [unrolled: 1-line block ×3, first 2 shown]
	v_add_f32_e32 v33, v33, v35
	v_add_f32_e32 v35, v63, v65
	s_waitcnt vmcnt(1)
	v_mul_f32_e32 v73, v144, v117
	v_mul_f32_e32 v74, v139, v119
	v_sub_f32_e32 v64, v42, v64
	v_sub_f32_e32 v28, v26, v28
	;; [unrolled: 1-line block ×3, first 2 shown]
	v_add_f32_e32 v42, v68, v42
	v_add_f32_e32 v26, v91, v26
	;; [unrolled: 1-line block ×4, first 2 shown]
	v_mul_f32_e32 v2, 0x3f4a47b2, v19
	v_mul_f32_e32 v19, 0x3f4a47b2, v40
	;; [unrolled: 1-line block ×7, first 2 shown]
	v_fmac_f32_e32 v73, v20, v116
	v_mul_f32_e32 v20, v20, v117
	v_fmac_f32_e32 v74, v27, v118
	v_mul_f32_e32 v27, v27, v119
	v_mul_f32_e32 v92, 0xbf5ff5aa, v62
	v_fmamk_f32 v33, v33, 0xbf955555, v0
	v_fmamk_f32 v35, v35, 0xbf955555, v91
	v_fma_f32 v40, v66, s4, -v40
	v_fma_f32 v63, v67, s4, -v63
	;; [unrolled: 1-line block ×3, first 2 shown]
	v_fmac_f32_e32 v2, 0x3d64c772, v37
	v_fma_f32 v37, v67, s3, -v19
	v_fmac_f32_e32 v19, 0x3d64c772, v43
	v_fma_f32 v43, v62, s2, -v65
	;; [unrolled: 2-line block ×4, first 2 shown]
	v_fma_f32 v20, v144, v116, -v20
	v_fma_f32 v27, v139, v118, -v27
	;; [unrolled: 1-line block ×3, first 2 shown]
	v_add_f32_e32 v2, v2, v33
	v_add_f32_e32 v19, v19, v35
	;; [unrolled: 1-line block ×5, first 2 shown]
	v_fmac_f32_e32 v65, 0xbee1c552, v42
	v_fmac_f32_e32 v43, 0xbee1c552, v42
	v_fmac_f32_e32 v28, 0xbee1c552, v26
	v_add_f32_e32 v35, v37, v35
	v_fmac_f32_e32 v68, 0xbee1c552, v26
	v_fmac_f32_e32 v62, 0xbee1c552, v42
	v_sub_f32_e32 v37, v19, v65
	v_add_f32_e32 v42, v28, v33
	v_add_f32_e32 v67, v43, v63
	v_sub_f32_e32 v92, v63, v43
	v_sub_f32_e32 v28, v33, v28
	v_add_f32_e32 v93, v65, v19
	v_add_f32_e32 v19, v69, v74
	;; [unrolled: 1-line block ×3, first 2 shown]
	v_sub_f32_e32 v24, v24, v27
	v_add_f32_e32 v27, v70, v73
	v_add_f32_e32 v43, v31, v20
	s_waitcnt vmcnt(0)
	v_mul_f32_e32 v76, v18, v123
	v_fmac_f32_e32 v30, 0xbee1c552, v26
	v_add_f32_e32 v26, v68, v2
	v_sub_f32_e32 v66, v35, v62
	v_add_f32_e32 v35, v62, v35
	v_sub_f32_e32 v2, v2, v68
	v_sub_f32_e32 v62, v70, v73
	;; [unrolled: 1-line block ×3, first 2 shown]
	v_add_f32_e32 v31, v71, v72
	v_add_f32_e32 v63, v22, v29
	v_sub_f32_e32 v65, v72, v71
	v_sub_f32_e32 v22, v29, v22
	v_add_f32_e32 v29, v27, v19
	v_add_f32_e32 v68, v43, v33
	v_fmac_f32_e32 v76, v10, v122
	v_mul_f32_e32 v10, v10, v123
	v_sub_f32_e32 v64, v40, v30
	v_add_f32_e32 v30, v30, v40
	v_sub_f32_e32 v40, v69, v74
	v_sub_f32_e32 v69, v27, v19
	v_sub_f32_e32 v70, v43, v33
	v_sub_f32_e32 v19, v19, v31
	v_sub_f32_e32 v33, v33, v63
	v_sub_f32_e32 v27, v31, v27
	v_sub_f32_e32 v43, v63, v43
	v_add_f32_e32 v71, v65, v62
	v_add_f32_e32 v72, v22, v20
	v_sub_f32_e32 v73, v65, v62
	v_sub_f32_e32 v74, v22, v20
	v_add_f32_e32 v29, v31, v29
	v_add_f32_e32 v31, v63, v68
	v_mul_f32_e32 v75, v141, v121
	v_fma_f32 v10, v18, v122, -v10
	v_mul_f32_e32 v18, v143, v113
	v_mul_f32_e32 v78, v146, v95
	v_sub_f32_e32 v65, v40, v65
	v_sub_f32_e32 v22, v24, v22
	;; [unrolled: 1-line block ×4, first 2 shown]
	v_add_f32_e32 v40, v71, v40
	v_add_f32_e32 v24, v72, v24
	v_add_f32_e32 v1, v1, v29
	v_add_f32_e32 v3, v3, v31
	v_mul_f32_e32 v19, 0x3f4a47b2, v19
	v_mul_f32_e32 v33, 0x3f4a47b2, v33
	;; [unrolled: 1-line block ×6, first 2 shown]
	v_fmac_f32_e32 v75, v25, v120
	v_mul_f32_e32 v25, v25, v121
	v_fmac_f32_e32 v18, v23, v112
	v_mul_f32_e32 v23, v23, v113
	;; [unrolled: 2-line block ×3, first 2 shown]
	v_mul_f32_e32 v73, 0xbf5ff5aa, v62
	v_mul_f32_e32 v74, 0xbf5ff5aa, v20
	v_fmamk_f32 v29, v29, 0xbf955555, v1
	v_fmamk_f32 v31, v31, 0xbf955555, v3
	v_fma_f32 v63, v69, s4, -v63
	v_fma_f32 v68, v70, s4, -v68
	;; [unrolled: 1-line block ×3, first 2 shown]
	v_fmac_f32_e32 v19, 0x3d64c772, v27
	v_fma_f32 v27, v70, s3, -v33
	v_fmac_f32_e32 v33, 0x3d64c772, v43
	v_fma_f32 v43, v62, s2, -v71
	v_fma_f32 v20, v20, s2, -v72
	;; [unrolled: 1-line block ×5, first 2 shown]
	v_fmac_f32_e32 v71, 0xbeae86e6, v65
	v_fmac_f32_e32 v72, 0xbeae86e6, v22
	v_fma_f32 v62, v65, s5, -v73
	v_fma_f32 v22, v22, s5, -v74
	v_add_f32_e32 v63, v63, v29
	v_add_f32_e32 v65, v68, v31
	v_fmac_f32_e32 v43, 0xbee1c552, v40
	v_fmac_f32_e32 v20, 0xbee1c552, v24
	v_add_f32_e32 v19, v19, v29
	v_add_f32_e32 v33, v33, v31
	;; [unrolled: 1-line block ×4, first 2 shown]
	v_fmac_f32_e32 v71, 0xbee1c552, v40
	v_fmac_f32_e32 v62, 0xbee1c552, v40
	v_fmac_f32_e32 v22, 0xbee1c552, v24
	v_sub_f32_e32 v40, v63, v20
	v_add_f32_e32 v74, v43, v65
	v_add_f32_e32 v20, v20, v63
	v_sub_f32_e32 v94, v65, v43
	v_add_f32_e32 v43, v25, v58
	v_sub_f32_e32 v25, v25, v58
	;; [unrolled: 2-line block ×4, first 2 shown]
	ds_write2_b32 v105, v4, v17 offset1:56
	ds_write2_b32 v105, v81, v88 offset0:112 offset1:168
	v_add_u32_e32 v17, 0x200, v105
	v_sub_f32_e32 v70, v33, v71
	v_add_f32_e32 v31, v22, v29
	v_sub_f32_e32 v73, v27, v62
	v_sub_f32_e32 v22, v29, v22
	v_add_f32_e32 v27, v62, v27
	v_add_f32_e32 v29, v71, v33
	;; [unrolled: 1-line block ×3, first 2 shown]
	v_sub_f32_e32 v62, v75, v78
	v_add_f32_e32 v58, v76, v16
	v_add_f32_e32 v21, v18, v77
	v_sub_f32_e32 v18, v77, v18
	v_add_f32_e32 v75, v8, v10
	v_sub_f32_e32 v77, v8, v10
	v_sub_f32_e32 v10, v10, v25
	ds_write2_b32 v17, v80, v11 offset0:96 offset1:152
	ds_write2_b32 v45, v6, v5 offset0:80 offset1:136
	ds_write_b32 v110, v36
	v_add_u32_e32 v11, 0x600, v105
	v_fmac_f32_e32 v72, 0xbee1c552, v24
	v_sub_f32_e32 v16, v76, v16
	v_add_f32_e32 v23, v58, v33
	v_add_f32_e32 v68, v63, v43
	v_sub_f32_e32 v8, v25, v8
	v_add_f32_e32 v25, v75, v25
	v_mul_f32_e32 v75, 0x3f08b237, v77
	v_mul_f32_e32 v77, 0xbf5ff5aa, v10
	ds_write2_b32 v11, v41, v84 offset0:120 offset1:176
	ds_write2_b32 v44, v32, v34 offset0:104 offset1:160
	ds_write_b32 v105, v7 offset:2912
	v_lshl_add_u32 v34, v54, 2, 0
	v_add_f32_e32 v24, v72, v19
	v_sub_f32_e32 v19, v19, v72
	v_sub_f32_e32 v69, v58, v33
	;; [unrolled: 1-line block ×4, first 2 shown]
	v_add_f32_e32 v72, v18, v16
	v_add_f32_e32 v21, v21, v23
	;; [unrolled: 1-line block ×3, first 2 shown]
	v_fma_f32 v10, v10, s2, -v75
	v_fmac_f32_e32 v75, 0xbeae86e6, v8
	v_fma_f32 v8, v8, s5, -v77
	v_add_u32_e32 v36, 0xc00, v34
	v_lshl_add_u32 v77, v57, 2, 0
	v_sub_f32_e32 v71, v63, v43
	v_sub_f32_e32 v43, v43, v65
	;; [unrolled: 1-line block ×6, first 2 shown]
	v_add_f32_e32 v62, v72, v62
	v_add_f32_e32 v53, v53, v21
	;; [unrolled: 1-line block ×3, first 2 shown]
	v_mul_f32_e32 v33, 0x3f4a47b2, v33
	v_mul_f32_e32 v55, 0x3d64c772, v58
	ds_write2_b32 v36, v0, v26 offset0:16 offset1:72
	ds_write2_b32 v36, v42, v64 offset0:128 offset1:184
	v_add_u32_e32 v26, 0xe00, v34
	v_add_u32_e32 v78, 0x1000, v77
	v_mul_f32_e32 v43, 0x3f4a47b2, v43
	v_mul_f32_e32 v65, 0x3d64c772, v63
	;; [unrolled: 1-line block ×4, first 2 shown]
	v_fmamk_f32 v21, v21, 0xbf955555, v53
	v_fma_f32 v55, v69, s4, -v55
	v_fma_f32 v69, v69, s3, -v33
	v_fmac_f32_e32 v33, 0x3d64c772, v58
	ds_write2_b32 v26, v30, v28 offset0:112 offset1:168
	ds_write_b32 v34, v2 offset:4480
	ds_write2_b32 v78, v1, v24 offset0:152 offset1:208
	v_add_u32_e32 v24, 0x1400, v77
	v_fmamk_f32 v23, v23, 0xbf955555, v72
	v_fma_f32 v65, v71, s4, -v65
	v_fma_f32 v58, v71, s3, -v43
	v_fmac_f32_e32 v43, 0x3d64c772, v63
	v_fma_f32 v16, v16, s2, -v68
	v_fmac_f32_e32 v68, 0xbeae86e6, v18
	v_fma_f32 v18, v18, s5, -v76
	v_add_f32_e32 v33, v33, v21
	v_fmac_f32_e32 v75, 0xbee1c552, v25
	ds_write2_b32 v24, v31, v40 offset0:8 offset1:64
	ds_write2_b32 v24, v20, v22 offset0:120 offset1:176
	ds_write_b32 v77, v19 offset:6048
	v_lshl_add_u32 v22, v56, 2, 0
	v_add_f32_e32 v43, v43, v23
	v_add_f32_e32 v55, v55, v21
	;; [unrolled: 1-line block ×5, first 2 shown]
	v_fmac_f32_e32 v10, 0xbee1c552, v25
	v_fmac_f32_e32 v18, 0xbee1c552, v62
	;; [unrolled: 1-line block ×3, first 2 shown]
	v_add_f32_e32 v25, v75, v33
	v_add_u32_e32 v80, 0x1800, v22
	v_fmac_f32_e32 v68, 0xbee1c552, v62
	v_fmac_f32_e32 v16, 0xbee1c552, v62
	v_add_f32_e32 v62, v8, v21
	v_sub_f32_e32 v71, v23, v18
	v_sub_f32_e32 v65, v55, v10
	v_add_f32_e32 v10, v10, v55
	v_sub_f32_e32 v8, v21, v8
	v_add_f32_e32 v23, v18, v23
	v_sub_f32_e32 v18, v33, v75
	ds_write2_b32 v80, v53, v25 offset0:32 offset1:88
	ds_write2_b32 v80, v62, v65 offset0:144 offset1:200
	v_add_u32_e32 v25, 0x1c00, v22
	v_sub_f32_e32 v58, v43, v68
	v_add_f32_e32 v76, v16, v63
	v_sub_f32_e32 v16, v63, v16
	v_add_f32_e32 v75, v68, v43
	ds_write2_b32 v25, v10, v8 offset1:56
	ds_write_b32 v22, v18 offset:7616
	s_waitcnt lgkmcnt(0)
	; wave barrier
	s_waitcnt lgkmcnt(0)
	ds_read2_b32 v[62:63], v105 offset1:56
	ds_read2_b32 v[64:65], v47 offset0:16 offset1:72
	ds_read2_b32 v[0:1], v50 offset0:96 offset1:152
	;; [unrolled: 1-line block ×11, first 2 shown]
	ds_read2_b32 v[20:21], v48 offset1:56
	ds_read_b32 v10, v107
	ds_read2_b32 v[6:7], v44 offset0:160 offset1:216
	ds_read2_b32 v[4:5], v46 offset0:176 offset1:232
	ds_read_b32 v84, v109
	ds_read_b32 v2, v108
	;; [unrolled: 1-line block ×3, first 2 shown]
	ds_read_b32 v8, v105 offset:7616
	s_waitcnt lgkmcnt(0)
	; wave barrier
	s_waitcnt lgkmcnt(0)
	ds_write2_b32 v105, v9, v59 offset1:56
	ds_write2_b32 v105, v87, v90 offset0:112 offset1:168
	ds_write2_b32 v17, v82, v83 offset0:96 offset1:152
	;; [unrolled: 1-line block ×3, first 2 shown]
	ds_write_b32 v110, v60
	ds_write2_b32 v11, v85, v86 offset0:120 offset1:176
	ds_write2_b32 v44, v38, v39 offset0:104 offset1:160
	ds_write_b32 v105, v89 offset:2912
	ds_write2_b32 v36, v91, v37 offset0:16 offset1:72
	ds_write2_b32 v36, v66, v67 offset0:128 offset1:184
	ds_write2_b32 v26, v92, v35 offset0:112 offset1:168
	ds_write_b32 v34, v93 offset:4480
	ds_write2_b32 v78, v3, v70 offset0:152 offset1:208
	;; [unrolled: 4-line block ×3, first 2 shown]
	ds_write2_b32 v80, v71, v76 offset0:144 offset1:200
	ds_write2_b32 v25, v16, v23 offset1:56
	ds_write_b32 v22, v75 offset:7616
	s_waitcnt lgkmcnt(0)
	; wave barrier
	s_waitcnt lgkmcnt(0)
	s_and_saveexec_b64 s[2:3], s[0:1]
	s_cbranch_execz .LBB0_29
; %bb.28:
	v_mov_b32_e32 v17, 0
	v_lshlrev_b32_e32 v22, 2, v98
	v_mov_b32_e32 v23, v17
	v_lshl_add_u64 v[22:23], v[22:23], 3, s[8:9]
	global_load_dwordx4 v[86:89], v[22:23], off offset:3104
	global_load_dwordx4 v[90:93], v[22:23], off offset:3120
	v_mad_u64_u32 v[96:97], s[0:1], s10, v14, 0
	s_mov_b32 s1, 0x5397829d
	v_lshlrev_b32_e32 v48, 2, v102
	v_lshlrev_b32_e32 v16, 2, v104
	v_add_u32_e32 v44, 0x800, v105
	v_add_u32_e32 v22, 0x1000, v105
	;; [unrolled: 1-line block ×9, first 2 shown]
	v_mov_b32_e32 v102, v1
	v_mov_b32_e32 v104, v1
	v_mul_hi_u32 v1, v98, s1
	v_lshlrev_b32_e32 v82, 2, v100
	v_mul_lo_u32 v9, s11, v14
	v_mul_lo_u32 v15, s10, v15
	ds_read_b32 v14, v105 offset:7616
	ds_read_b32 v11, v107
	ds_read_b32 v100, v109
	;; [unrolled: 1-line block ×4, first 2 shown]
	ds_read2_b32 v[52:53], v105 offset0:112 offset1:168
	ds_read2_b32 v[74:75], v105 offset1:56
	ds_read2_b32 v[26:27], v44 offset0:160 offset1:216
	ds_read2_b32 v[24:25], v22 offset0:96 offset1:152
	;; [unrolled: 1-line block ×4, first 2 shown]
	ds_read2_b32 v[38:39], v38 offset1:56
	ds_read2_b32 v[46:47], v44 offset0:48 offset1:104
	ds_read2_b32 v[44:45], v45 offset0:64 offset1:120
	ds_read2_b32 v[66:67], v78 offset0:128 offset1:184
	ds_read2_b32 v[58:59], v80 offset0:144 offset1:200
	ds_read2_b32 v[76:77], v70 offset0:192 offset1:248
	ds_read2_b32 v[70:71], v71 offset0:80 offset1:136
	ds_read2_b32 v[78:79], v78 offset0:16 offset1:72
	ds_read2_b32 v[80:81], v80 offset0:32 offset1:88
	v_lshrrev_b32_e32 v1, 7, v1
	v_add3_u32 v97, v97, v15, v9
	v_mul_u32_u24_e32 v1, 0x188, v1
	v_lshl_add_u64 v[96:97], v[96:97], 3, s[6:7]
	v_sub_u32_e32 v1, v98, v1
	v_lshl_add_u64 v[36:37], v[16:17], 3, s[8:9]
	v_lshl_add_u64 v[12:13], v[12:13], 3, v[96:97]
	v_lshlrev_b32_e32 v16, 3, v1
	v_lshl_add_u64 v[96:97], v[12:13], 0, v[16:17]
	s_waitcnt lgkmcnt(11)
	v_mov_b32_e32 v16, v25
	v_lshlrev_b32_e32 v94, 2, v99
	v_lshlrev_b32_e32 v72, 2, v101
	v_mov_b32_e32 v95, v17
	v_lshl_add_u64 v[94:95], v[94:95], 3, s[8:9]
	v_lshlrev_b32_e32 v60, 2, v103
	s_mov_b32 s0, 0x3f737871
	s_mov_b32 s4, 0x3f167918
	s_movk_i32 s3, 0x1000
	s_mov_b32 s2, 0x3e9e377a
	v_add_u32_e32 v1, 56, v98
	v_mul_hi_u32 v9, v1, s1
	v_lshrrev_b32_e32 v9, 7, v9
	v_mul_u32_u24_e32 v15, 0x188, v9
	v_sub_u32_e32 v1, v1, v15
	v_mov_b32_e32 v83, v17
	v_lshl_add_u64 v[82:83], v[82:83], 3, s[8:9]
	v_mov_b32_e32 v73, v17
	v_lshl_add_u64 v[72:73], v[72:73], 3, s[8:9]
	;; [unrolled: 2-line block ×4, first 2 shown]
	s_waitcnt vmcnt(1)
	v_pk_mul_f32 v[100:101], v[86:87], v[100:101] op_sel_hi:[1,0]
	s_waitcnt lgkmcnt(1)
	v_pk_mul_f32 v[106:107], v[88:89], v[78:79] op_sel_hi:[1,0]
	s_waitcnt vmcnt(0) lgkmcnt(0)
	v_pk_mul_f32 v[108:109], v[92:93], v[80:81] op_sel_hi:[1,0]
	v_pk_mul_f32 v[110:111], v[90:91], v[16:17] op_sel_hi:[1,0]
	v_pk_fma_f32 v[112:113], v[84:85], v[86:87], v[100:101] op_sel:[0,0,1] op_sel_hi:[1,1,0]
	v_pk_fma_f32 v[84:85], v[84:85], v[86:87], v[100:101] op_sel:[0,0,1] op_sel_hi:[0,1,0] neg_lo:[1,0,0] neg_hi:[1,0,0]
	v_pk_fma_f32 v[100:101], v[64:65], v[88:89], v[106:107] op_sel:[0,0,1] op_sel_hi:[1,1,0]
	v_pk_fma_f32 v[86:87], v[64:65], v[88:89], v[106:107] op_sel:[0,0,1] op_sel_hi:[0,1,0] neg_lo:[1,0,0] neg_hi:[1,0,0]
	;; [unrolled: 2-line block ×4, first 2 shown]
	v_mov_b32_e32 v113, v85
	v_mov_b32_e32 v101, v87
	;; [unrolled: 1-line block ×4, first 2 shown]
	global_load_dwordx4 v[84:87], v[94:95], off offset:3120
	global_load_dwordx4 v[88:91], v[94:95], off offset:3104
	v_mov_b32_e32 v102, v62
	v_mov_b32_e32 v103, v74
	v_pk_add_f32 v[94:95], v[102:103], v[112:113]
	v_pk_add_f32 v[110:111], v[100:101], v[92:93] neg_lo:[0,1] neg_hi:[0,1]
	v_pk_add_f32 v[94:95], v[94:95], v[100:101]
	v_pk_add_f32 v[116:117], v[112:113], v[100:101] neg_lo:[0,1] neg_hi:[0,1]
	;; [unrolled: 2-line block ×3, first 2 shown]
	v_pk_add_f32 v[94:95], v[106:107], v[94:95]
	global_store_dwordx2 v[96:97], v[94:95], off
	v_pk_add_f32 v[94:95], v[100:101], v[92:93]
	v_pk_add_f32 v[100:101], v[100:101], v[112:113] neg_lo:[0,1] neg_hi:[0,1]
	v_pk_add_f32 v[92:93], v[92:93], v[106:107] neg_lo:[0,1] neg_hi:[0,1]
	;; [unrolled: 1-line block ×3, first 2 shown]
	v_pk_add_f32 v[92:93], v[100:101], v[92:93]
	v_pk_add_f32 v[100:101], v[112:113], v[106:107]
	v_pk_fma_f32 v[94:95], v[94:95], 0.5, v[102:103] op_sel_hi:[1,0,1] neg_lo:[1,0,0] neg_hi:[1,0,0]
	v_pk_mul_f32 v[108:109], v[104:105], s[0:1] op_sel_hi:[1,0]
	v_pk_fma_f32 v[100:101], v[100:101], 0.5, v[102:103] op_sel_hi:[1,0,1] neg_lo:[1,0,0] neg_hi:[1,0,0]
	v_pk_mul_f32 v[102:103], v[110:111], s[0:1] op_sel_hi:[1,0]
	v_pk_mul_f32 v[114:115], v[110:111], s[4:5] op_sel_hi:[1,0]
	v_pk_add_f32 v[116:117], v[116:117], v[118:119]
	v_pk_add_f32 v[118:119], v[94:95], v[108:109] op_sel:[0,1] op_sel_hi:[1,0] neg_lo:[0,1] neg_hi:[0,1]
	v_pk_add_f32 v[94:95], v[94:95], v[108:109] op_sel:[0,1] op_sel_hi:[1,0]
	v_pk_add_f32 v[106:107], v[100:101], v[102:103] op_sel:[0,1] op_sel_hi:[1,0]
	v_pk_add_f32 v[100:101], v[100:101], v[102:103] op_sel:[0,1] op_sel_hi:[1,0] neg_lo:[0,1] neg_hi:[0,1]
	v_pk_mul_f32 v[102:103], v[104:105], s[4:5] op_sel_hi:[1,0]
	v_pk_add_f32 v[94:95], v[94:95], v[114:115] op_sel:[0,1] op_sel_hi:[1,0]
	v_pk_add_f32 v[108:109], v[118:119], v[114:115] op_sel:[0,1] op_sel_hi:[1,0] neg_lo:[0,1] neg_hi:[0,1]
	v_pk_add_f32 v[100:101], v[100:101], v[102:103] op_sel:[0,1] op_sel_hi:[1,0]
	v_pk_add_f32 v[102:103], v[106:107], v[102:103] op_sel:[0,1] op_sel_hi:[1,0] neg_lo:[0,1] neg_hi:[0,1]
	v_mov_b32_e32 v114, v108
	v_mov_b32_e32 v115, v95
	;; [unrolled: 1-line block ×4, first 2 shown]
	v_add_co_u32_e32 v106, vcc, s3, v96
	v_mov_b32_e32 v101, v103
	v_pk_fma_f32 v[114:115], v[116:117], s[2:3], v[114:115] op_sel_hi:[1,0,1]
	v_pk_fma_f32 v[104:105], v[92:93], s[2:3], v[104:105] op_sel_hi:[1,0,1]
	v_addc_co_u32_e32 v107, vcc, 0, v97, vcc
	v_pk_fma_f32 v[92:93], v[92:93], s[2:3], v[100:101] op_sel_hi:[1,0,1]
	s_movk_i32 s3, 0x2000
	v_add_co_u32_e32 v100, vcc, s3, v96
	v_mov_b32_e32 v95, v109
	s_nop 0
	v_addc_co_u32_e32 v101, vcc, 0, v97, vcc
	global_store_dwordx2 v[100:101], v[92:93], off offset:1216
	v_pk_fma_f32 v[92:93], v[116:117], s[2:3], v[94:95] op_sel_hi:[1,0,1]
	s_movk_i32 s3, 0x3000
	v_add_co_u32_e32 v94, vcc, s3, v96
	s_movk_i32 s3, 0x7a8
	s_nop 0
	v_addc_co_u32_e32 v95, vcc, 0, v97, vcc
	v_mad_u32_u24 v16, v9, s3, v1
	global_store_dwordx2 v[94:95], v[92:93], off offset:256
	v_add_u32_e32 v92, 0x188, v16
	v_mov_b32_e32 v93, v17
	global_store_dwordx2 v[106:107], v[104:105], off offset:2176
	v_lshl_add_u64 v[104:105], v[92:93], 3, v[12:13]
	v_add_u32_e32 v92, 0x310, v16
	v_lshl_add_u64 v[106:107], v[92:93], 3, v[12:13]
	v_add_u32_e32 v92, 0x498, v16
	global_store_dwordx2 v[96:97], v[114:115], off offset:3136
	v_lshl_add_u64 v[108:109], v[92:93], 3, v[12:13]
	v_lshl_add_u64 v[96:97], v[16:17], 3, v[12:13]
	v_add_u32_e32 v16, 0x620, v16
	v_lshl_add_u64 v[110:111], v[16:17], 3, v[12:13]
	v_mov_b32_e32 v16, v69
	v_mov_b32_e32 v74, v63
	v_add_u32_e32 v1, 0x70, v98
	v_mul_hi_u32 v9, v1, s1
	v_lshrrev_b32_e32 v9, 7, v9
	v_mul_u32_u24_e32 v15, 0x188, v9
	v_sub_u32_e32 v1, v1, v15
	s_waitcnt vmcnt(5)
	v_pk_mul_f32 v[92:93], v[88:89], v[76:77] op_sel_hi:[1,0]
	s_nop 0
	v_pk_fma_f32 v[112:113], v[56:57], v[88:89], v[92:93] op_sel:[0,0,1] op_sel_hi:[1,1,0]
	v_pk_fma_f32 v[88:89], v[56:57], v[88:89], v[92:93] op_sel:[0,0,1] op_sel_hi:[0,1,0] neg_lo:[1,0,0] neg_hi:[1,0,0]
	global_load_dwordx4 v[92:95], v[82:83], off offset:3120
	global_load_dwordx4 v[100:103], v[82:83], off offset:3104
	v_mov_b32_e32 v56, v81
	v_pk_mul_f32 v[80:81], v[86:87], v[56:57] op_sel_hi:[1,0]
	v_mov_b32_e32 v56, v79
	v_pk_fma_f32 v[82:83], v[16:17], v[86:87], v[80:81] op_sel:[0,0,1] op_sel_hi:[1,1,0]
	v_pk_fma_f32 v[68:69], v[16:17], v[86:87], v[80:81] op_sel:[0,0,1] op_sel_hi:[0,1,0] neg_lo:[1,0,0] neg_hi:[1,0,0]
	v_mov_b32_e32 v83, v69
	v_mov_b32_e32 v16, v65
	v_pk_mul_f32 v[68:69], v[90:91], v[56:57] op_sel_hi:[1,0]
	v_mov_b32_e32 v113, v89
	v_pk_fma_f32 v[78:79], v[16:17], v[90:91], v[68:69] op_sel:[0,0,1] op_sel_hi:[1,1,0]
	v_pk_fma_f32 v[64:65], v[16:17], v[90:91], v[68:69] op_sel:[0,0,1] op_sel_hi:[0,1,0] neg_lo:[1,0,0] neg_hi:[1,0,0]
	v_mov_b32_e32 v79, v65
	v_pk_mul_f32 v[64:65], v[84:85], v[70:71] op_sel_hi:[1,0]
	v_pk_add_f32 v[90:91], v[74:75], v[112:113]
	v_pk_fma_f32 v[68:69], v[54:55], v[84:85], v[64:65] op_sel:[0,0,1] op_sel_hi:[1,1,0]
	v_pk_fma_f32 v[64:65], v[54:55], v[84:85], v[64:65] op_sel:[0,0,1] op_sel_hi:[0,1,0] neg_lo:[1,0,0] neg_hi:[1,0,0]
	v_mov_b32_e32 v69, v65
	v_pk_add_f32 v[64:65], v[112:113], v[78:79] neg_lo:[0,1] neg_hi:[0,1]
	v_pk_add_f32 v[80:81], v[82:83], v[68:69] neg_lo:[0,1] neg_hi:[0,1]
	;; [unrolled: 1-line block ×3, first 2 shown]
	v_pk_add_f32 v[64:65], v[64:65], v[80:81]
	v_pk_add_f32 v[80:81], v[78:79], v[68:69]
	;; [unrolled: 1-line block ×3, first 2 shown]
	v_pk_fma_f32 v[62:63], v[80:81], 0.5, v[74:75] op_sel_hi:[1,0,1] neg_lo:[1,0,0] neg_hi:[1,0,0]
	v_pk_add_f32 v[80:81], v[112:113], v[82:83] neg_lo:[0,1] neg_hi:[0,1]
	v_pk_add_f32 v[90:91], v[90:91], v[68:69]
	v_pk_fma_f32 v[84:85], v[80:81], s[0:1], v[62:63] op_sel:[1,0,0] op_sel_hi:[0,0,1]
	v_pk_fma_f32 v[62:63], v[80:81], s[0:1], v[62:63] op_sel:[1,0,0] op_sel_hi:[0,0,1] neg_lo:[1,0,0] neg_hi:[1,0,0]
	v_pk_fma_f32 v[62:63], v[86:87], s[4:5], v[62:63] op_sel:[1,0,0] op_sel_hi:[0,0,1] neg_lo:[1,0,0] neg_hi:[1,0,0]
	v_pk_fma_f32 v[84:85], v[86:87], s[4:5], v[84:85] op_sel:[1,0,0] op_sel_hi:[0,0,1]
	v_mov_b32_e32 v89, v63
	v_mov_b32_e32 v63, v85
	;; [unrolled: 1-line block ×3, first 2 shown]
	v_pk_fma_f32 v[62:63], v[64:65], s[2:3], v[62:63] op_sel_hi:[1,0,1]
	v_pk_fma_f32 v[88:89], v[64:65], s[2:3], v[88:89] op_sel_hi:[1,0,1]
	global_store_dwordx2 v[104:105], v[62:63], off
	v_pk_add_f32 v[62:63], v[78:79], v[112:113] neg_lo:[0,1] neg_hi:[0,1]
	v_pk_add_f32 v[64:65], v[68:69], v[82:83] neg_lo:[0,1] neg_hi:[0,1]
	v_pk_add_f32 v[90:91], v[82:83], v[90:91]
	v_pk_add_f32 v[62:63], v[62:63], v[64:65]
	;; [unrolled: 1-line block ×3, first 2 shown]
	v_mad_u32_u24 v16, v9, s3, v1
	v_pk_fma_f32 v[64:65], v[64:65], 0.5, v[74:75] op_sel_hi:[1,0,1] neg_lo:[1,0,0] neg_hi:[1,0,0]
	global_store_dwordx2 v[96:97], v[90:91], off
	v_pk_fma_f32 v[68:69], v[86:87], s[0:1], v[64:65] op_sel:[1,0,0] op_sel_hi:[0,0,1] neg_lo:[1,0,0] neg_hi:[1,0,0]
	v_pk_fma_f32 v[64:65], v[86:87], s[0:1], v[64:65] op_sel:[1,0,0] op_sel_hi:[0,0,1]
	v_pk_fma_f32 v[64:65], v[80:81], s[4:5], v[64:65] op_sel:[1,0,0] op_sel_hi:[0,0,1] neg_lo:[1,0,0] neg_hi:[1,0,0]
	v_pk_fma_f32 v[68:69], v[80:81], s[4:5], v[68:69] op_sel:[1,0,0] op_sel_hi:[0,0,1]
	v_mov_b32_e32 v74, v68
	v_mov_b32_e32 v75, v65
	;; [unrolled: 1-line block ×3, first 2 shown]
	v_pk_fma_f32 v[74:75], v[62:63], s[2:3], v[74:75] op_sel_hi:[1,0,1]
	v_pk_fma_f32 v[62:63], v[62:63], s[2:3], v[64:65] op_sel_hi:[1,0,1]
	global_store_dwordx2 v[106:107], v[62:63], off
	global_store_dwordx2 v[108:109], v[74:75], off
	;; [unrolled: 1-line block ×3, first 2 shown]
	v_add_u32_e32 v62, 0x188, v16
	v_mov_b32_e32 v63, v17
	v_lshl_add_u64 v[78:79], v[62:63], 3, v[12:13]
	v_add_u32_e32 v62, 0x310, v16
	v_lshl_add_u64 v[68:69], v[16:17], 3, v[12:13]
	v_lshl_add_u64 v[80:81], v[62:63], 3, v[12:13]
	v_add_u32_e32 v62, 0x498, v16
	v_add_u32_e32 v16, 0x620, v16
	v_mov_b32_e32 v54, v77
	v_lshl_add_u64 v[84:85], v[16:17], 3, v[12:13]
	v_mov_b32_e32 v16, v57
	v_lshl_add_u64 v[82:83], v[62:63], 3, v[12:13]
	global_load_dwordx4 v[62:65], v[72:73], off offset:3120
	global_load_dwordx4 v[74:77], v[72:73], off offset:3104
	v_mov_b32_e32 v90, v40
	v_mov_b32_e32 v91, v52
	v_add_u32_e32 v1, 0xa8, v98
	v_mul_hi_u32 v9, v1, s1
	v_lshrrev_b32_e32 v9, 7, v9
	v_mul_u32_u24_e32 v15, 0x188, v9
	v_sub_u32_e32 v1, v1, v15
	v_mov_b32_e32 v40, v67
	v_mov_b32_e32 v52, v41
	s_waitcnt vmcnt(7)
	v_pk_mul_f32 v[86:87], v[100:101], v[54:55] op_sel_hi:[1,0]
	s_nop 0
	v_pk_fma_f32 v[88:89], v[16:17], v[100:101], v[86:87] op_sel:[0,0,1] op_sel_hi:[1,1,0]
	v_pk_fma_f32 v[56:57], v[16:17], v[100:101], v[86:87] op_sel:[0,0,1] op_sel_hi:[0,1,0] neg_lo:[1,0,0] neg_hi:[1,0,0]
	v_mov_b32_e32 v89, v57
	v_pk_mul_f32 v[56:57], v[94:95], v[58:59] op_sel_hi:[1,0]
	v_mov_b32_e32 v16, v55
	v_pk_fma_f32 v[72:73], v[42:43], v[94:95], v[56:57] op_sel:[0,0,1] op_sel_hi:[1,1,0]
	v_pk_fma_f32 v[56:57], v[42:43], v[94:95], v[56:57] op_sel:[0,0,1] op_sel_hi:[0,1,0] neg_lo:[1,0,0] neg_hi:[1,0,0]
	v_mov_b32_e32 v73, v57
	v_pk_mul_f32 v[56:57], v[102:103], v[66:67] op_sel_hi:[1,0]
	v_mov_b32_e32 v42, v71
	v_pk_fma_f32 v[86:87], v[50:51], v[102:103], v[56:57] op_sel:[0,0,1] op_sel_hi:[1,1,0]
	v_pk_fma_f32 v[56:57], v[50:51], v[102:103], v[56:57] op_sel:[0,0,1] op_sel_hi:[0,1,0] neg_lo:[1,0,0] neg_hi:[1,0,0]
	v_mov_b32_e32 v87, v57
	v_pk_mul_f32 v[56:57], v[92:93], v[42:43] op_sel_hi:[1,0]
	v_pk_add_f32 v[102:103], v[90:91], v[88:89]
	v_pk_fma_f32 v[70:71], v[16:17], v[92:93], v[56:57] op_sel:[0,0,1] op_sel_hi:[1,1,0]
	v_pk_fma_f32 v[54:55], v[16:17], v[92:93], v[56:57] op_sel:[0,0,1] op_sel_hi:[0,1,0] neg_lo:[1,0,0] neg_hi:[1,0,0]
	v_mov_b32_e32 v71, v55
	v_pk_add_f32 v[54:55], v[88:89], v[86:87] neg_lo:[0,1] neg_hi:[0,1]
	v_pk_add_f32 v[56:57], v[72:73], v[70:71] neg_lo:[0,1] neg_hi:[0,1]
	v_pk_add_f32 v[92:93], v[88:89], v[72:73] neg_lo:[0,1] neg_hi:[0,1]
	v_pk_add_f32 v[54:55], v[54:55], v[56:57]
	v_pk_add_f32 v[56:57], v[86:87], v[70:71]
	v_pk_add_f32 v[96:97], v[86:87], v[70:71] neg_lo:[0,1] neg_hi:[0,1]
	v_pk_fma_f32 v[56:57], v[56:57], 0.5, v[90:91] op_sel_hi:[1,0,1] neg_lo:[1,0,0] neg_hi:[1,0,0]
	v_pk_add_f32 v[102:103], v[102:103], v[86:87]
	v_pk_fma_f32 v[94:95], v[92:93], s[0:1], v[56:57] op_sel:[1,0,0] op_sel_hi:[0,0,1]
	v_pk_fma_f32 v[56:57], v[92:93], s[0:1], v[56:57] op_sel:[1,0,0] op_sel_hi:[0,0,1] neg_lo:[1,0,0] neg_hi:[1,0,0]
	v_pk_fma_f32 v[56:57], v[96:97], s[4:5], v[56:57] op_sel:[1,0,0] op_sel_hi:[0,0,1] neg_lo:[1,0,0] neg_hi:[1,0,0]
	v_pk_fma_f32 v[94:95], v[96:97], s[4:5], v[94:95] op_sel:[1,0,0] op_sel_hi:[0,0,1]
	v_mov_b32_e32 v100, v94
	v_mov_b32_e32 v101, v57
	;; [unrolled: 1-line block ×3, first 2 shown]
	v_pk_fma_f32 v[100:101], v[54:55], s[2:3], v[100:101] op_sel_hi:[1,0,1]
	v_pk_fma_f32 v[54:55], v[54:55], s[2:3], v[56:57] op_sel_hi:[1,0,1]
	global_store_dwordx2 v[78:79], v[54:55], off
	v_pk_add_f32 v[54:55], v[86:87], v[88:89] neg_lo:[0,1] neg_hi:[0,1]
	v_pk_add_f32 v[56:57], v[70:71], v[72:73] neg_lo:[0,1] neg_hi:[0,1]
	v_pk_add_f32 v[102:103], v[102:103], v[70:71]
	v_pk_add_f32 v[54:55], v[54:55], v[56:57]
	;; [unrolled: 1-line block ×4, first 2 shown]
	v_pk_fma_f32 v[56:57], v[56:57], 0.5, v[90:91] op_sel_hi:[1,0,1] neg_lo:[1,0,0] neg_hi:[1,0,0]
	global_store_dwordx2 v[68:69], v[102:103], off
	v_pk_fma_f32 v[68:69], v[96:97], s[0:1], v[56:57] op_sel:[1,0,0] op_sel_hi:[0,0,1] neg_lo:[1,0,0] neg_hi:[1,0,0]
	v_pk_fma_f32 v[56:57], v[96:97], s[0:1], v[56:57] op_sel:[1,0,0] op_sel_hi:[0,0,1]
	v_pk_fma_f32 v[56:57], v[92:93], s[4:5], v[56:57] op_sel:[1,0,0] op_sel_hi:[0,0,1] neg_lo:[1,0,0] neg_hi:[1,0,0]
	v_pk_fma_f32 v[68:69], v[92:93], s[4:5], v[68:69] op_sel:[1,0,0] op_sel_hi:[0,0,1]
	v_mov_b32_e32 v70, v68
	v_mov_b32_e32 v71, v57
	;; [unrolled: 1-line block ×3, first 2 shown]
	v_pk_fma_f32 v[70:71], v[54:55], s[2:3], v[70:71] op_sel_hi:[1,0,1]
	v_pk_fma_f32 v[54:55], v[54:55], s[2:3], v[56:57] op_sel_hi:[1,0,1]
	v_mad_u32_u24 v16, v9, s3, v1
	global_store_dwordx2 v[80:81], v[54:55], off
	global_store_dwordx2 v[82:83], v[70:71], off
	;; [unrolled: 1-line block ×3, first 2 shown]
	v_add_u32_e32 v54, 0x188, v16
	v_mov_b32_e32 v55, v17
	v_lshl_add_u64 v[72:73], v[54:55], 3, v[12:13]
	v_add_u32_e32 v54, 0x310, v16
	v_lshl_add_u64 v[78:79], v[54:55], 3, v[12:13]
	v_add_u32_e32 v54, 0x498, v16
	v_lshl_add_u64 v[80:81], v[54:55], 3, v[12:13]
	global_load_dwordx4 v[54:57], v[60:61], off offset:3120
	global_load_dwordx4 v[66:69], v[60:61], off offset:3104
	v_lshl_add_u64 v[70:71], v[16:17], 3, v[12:13]
	v_add_u32_e32 v16, 0x620, v16
	v_lshl_add_u64 v[82:83], v[16:17], 3, v[12:13]
	v_mov_b32_e32 v16, v51
	s_waitcnt vmcnt(7)
	v_pk_mul_f32 v[84:85], v[76:77], v[40:41] op_sel_hi:[1,0]
	v_add_u32_e32 v1, 0xe0, v98
	v_pk_fma_f32 v[86:87], v[16:17], v[76:77], v[84:85] op_sel:[0,0,1] op_sel_hi:[1,1,0]
	v_pk_fma_f32 v[50:51], v[16:17], v[76:77], v[84:85] op_sel:[0,0,1] op_sel_hi:[0,1,0] neg_lo:[1,0,0] neg_hi:[1,0,0]
	v_mov_b32_e32 v87, v51
	v_pk_mul_f32 v[50:51], v[74:75], v[46:47] op_sel_hi:[1,0]
	v_mov_b32_e32 v16, v43
	v_pk_fma_f32 v[60:61], v[32:33], v[74:75], v[50:51] op_sel:[0,0,1] op_sel_hi:[1,1,0]
	v_pk_fma_f32 v[50:51], v[32:33], v[74:75], v[50:51] op_sel:[0,0,1] op_sel_hi:[0,1,0] neg_lo:[1,0,0] neg_hi:[1,0,0]
	v_mov_b32_e32 v61, v51
	v_pk_mul_f32 v[50:51], v[62:63], v[44:45] op_sel_hi:[1,0]
	v_pk_add_f32 v[84:85], v[52:53], v[60:61]
	v_pk_fma_f32 v[74:75], v[30:31], v[62:63], v[50:51] op_sel:[0,0,1] op_sel_hi:[1,1,0]
	v_pk_fma_f32 v[50:51], v[30:31], v[62:63], v[50:51] op_sel:[0,0,1] op_sel_hi:[0,1,0] neg_lo:[1,0,0] neg_hi:[1,0,0]
	v_mov_b32_e32 v30, v59
	v_mov_b32_e32 v75, v51
	v_pk_mul_f32 v[50:51], v[64:65], v[30:31] op_sel_hi:[1,0]
	v_pk_add_f32 v[62:63], v[86:87], v[74:75]
	v_pk_fma_f32 v[58:59], v[16:17], v[64:65], v[50:51] op_sel:[0,0,1] op_sel_hi:[1,1,0]
	v_pk_fma_f32 v[42:43], v[16:17], v[64:65], v[50:51] op_sel:[0,0,1] op_sel_hi:[0,1,0] neg_lo:[1,0,0] neg_hi:[1,0,0]
	v_mov_b32_e32 v59, v43
	v_pk_add_f32 v[50:51], v[60:61], v[58:59] neg_lo:[0,1] neg_hi:[0,1]
	v_pk_fma_f32 v[40:41], v[62:63], 0.5, v[52:53] op_sel_hi:[1,0,1] neg_lo:[1,0,0] neg_hi:[1,0,0]
	v_pk_add_f32 v[62:63], v[60:61], v[86:87] neg_lo:[0,1] neg_hi:[0,1]
	v_pk_add_f32 v[64:65], v[58:59], v[74:75] neg_lo:[0,1] neg_hi:[0,1]
	;; [unrolled: 1-line block ×3, first 2 shown]
	v_pk_add_f32 v[62:63], v[62:63], v[64:65]
	v_pk_fma_f32 v[64:65], v[50:51], s[0:1], v[40:41] op_sel:[1,0,0] op_sel_hi:[0,0,1]
	v_pk_fma_f32 v[40:41], v[50:51], s[0:1], v[40:41] op_sel:[1,0,0] op_sel_hi:[0,0,1] neg_lo:[1,0,0] neg_hi:[1,0,0]
	v_pk_fma_f32 v[40:41], v[42:43], s[4:5], v[40:41] op_sel:[1,0,0] op_sel_hi:[0,0,1] neg_lo:[1,0,0] neg_hi:[1,0,0]
	v_pk_fma_f32 v[64:65], v[42:43], s[4:5], v[64:65] op_sel:[1,0,0] op_sel_hi:[0,0,1]
	v_pk_add_f32 v[84:85], v[86:87], v[84:85]
	v_mov_b32_e32 v76, v64
	v_mov_b32_e32 v77, v41
	v_pk_add_f32 v[84:85], v[84:85], v[74:75]
	v_mov_b32_e32 v41, v65
	v_pk_fma_f32 v[76:77], v[62:63], s[2:3], v[76:77] op_sel_hi:[1,0,1]
	v_pk_add_f32 v[84:85], v[84:85], v[58:59]
	v_pk_fma_f32 v[40:41], v[62:63], s[2:3], v[40:41] op_sel_hi:[1,0,1]
	v_pk_add_f32 v[62:63], v[74:75], v[58:59] neg_lo:[0,1] neg_hi:[0,1]
	v_pk_add_f32 v[58:59], v[60:61], v[58:59]
	v_mul_hi_u32 v9, v1, s1
	v_pk_fma_f32 v[52:53], v[58:59], 0.5, v[52:53] op_sel_hi:[1,0,1] neg_lo:[1,0,0] neg_hi:[1,0,0]
	v_lshrrev_b32_e32 v9, 7, v9
	v_pk_fma_f32 v[58:59], v[42:43], s[0:1], v[52:53] op_sel:[1,0,0] op_sel_hi:[0,0,1] neg_lo:[1,0,0] neg_hi:[1,0,0]
	v_pk_fma_f32 v[42:43], v[42:43], s[0:1], v[52:53] op_sel:[1,0,0] op_sel_hi:[0,0,1]
	global_store_dwordx2 v[72:73], v[40:41], off
	v_pk_add_f32 v[40:41], v[86:87], v[60:61] neg_lo:[0,1] neg_hi:[0,1]
	v_pk_fma_f32 v[42:43], v[50:51], s[4:5], v[42:43] op_sel:[1,0,0] op_sel_hi:[0,0,1] neg_lo:[1,0,0] neg_hi:[1,0,0]
	v_pk_fma_f32 v[50:51], v[50:51], s[4:5], v[58:59] op_sel:[1,0,0] op_sel_hi:[0,0,1]
	v_mul_u32_u24_e32 v15, 0x188, v9
	v_pk_add_f32 v[40:41], v[40:41], v[62:63]
	v_mov_b32_e32 v52, v50
	v_mov_b32_e32 v53, v43
	;; [unrolled: 1-line block ×3, first 2 shown]
	v_sub_u32_e32 v1, v1, v15
	v_pk_fma_f32 v[52:53], v[40:41], s[2:3], v[52:53] op_sel_hi:[1,0,1]
	v_pk_fma_f32 v[40:41], v[40:41], s[2:3], v[42:43] op_sel_hi:[1,0,1]
	v_mad_u32_u24 v16, v9, s3, v1
	global_store_dwordx2 v[70:71], v[84:85], off
	global_store_dwordx2 v[78:79], v[40:41], off
	;; [unrolled: 1-line block ×4, first 2 shown]
	v_add_u32_e32 v40, 0x188, v16
	v_mov_b32_e32 v41, v17
	v_lshl_add_u64 v[60:61], v[40:41], 3, v[12:13]
	v_add_u32_e32 v40, 0x310, v16
	v_lshl_add_u64 v[58:59], v[16:17], 3, v[12:13]
	v_lshl_add_u64 v[62:63], v[40:41], 3, v[12:13]
	v_add_u32_e32 v40, 0x498, v16
	v_add_u32_e32 v16, 0x620, v16
	v_mov_b32_e32 v30, v47
	v_lshl_add_u64 v[70:71], v[16:17], 3, v[12:13]
	v_mov_b32_e32 v16, v33
	v_lshl_add_u64 v[64:65], v[40:41], 3, v[12:13]
	global_load_dwordx4 v[40:43], v[48:49], off offset:3120
	global_load_dwordx4 v[50:53], v[48:49], off offset:3104
	v_add_u32_e32 v1, 0x118, v98
	s_waitcnt vmcnt(7)
	v_pk_mul_f32 v[46:47], v[66:67], v[30:31] op_sel_hi:[1,0]
	v_mul_hi_u32 v9, v1, s1
	v_pk_fma_f32 v[48:49], v[16:17], v[66:67], v[46:47] op_sel:[0,0,1] op_sel_hi:[1,1,0]
	v_pk_fma_f32 v[32:33], v[16:17], v[66:67], v[46:47] op_sel:[0,0,1] op_sel_hi:[0,1,0] neg_lo:[1,0,0] neg_hi:[1,0,0]
	v_mov_b32_e32 v49, v33
	v_pk_mul_f32 v[32:33], v[56:57], v[38:39] op_sel_hi:[1,0]
	v_mov_b32_e32 v16, v31
	v_pk_fma_f32 v[46:47], v[20:21], v[56:57], v[32:33] op_sel:[0,0,1] op_sel_hi:[1,1,0]
	v_pk_fma_f32 v[32:33], v[20:21], v[56:57], v[32:33] op_sel:[0,0,1] op_sel_hi:[0,1,0] neg_lo:[1,0,0] neg_hi:[1,0,0]
	v_mov_b32_e32 v47, v33
	v_pk_mul_f32 v[32:33], v[68:69], v[34:35] op_sel_hi:[1,0]
	v_pk_add_f32 v[74:75], v[28:29], v[48:49]
	v_pk_fma_f32 v[56:57], v[18:19], v[68:69], v[32:33] op_sel:[0,0,1] op_sel_hi:[1,1,0]
	v_pk_fma_f32 v[32:33], v[18:19], v[68:69], v[32:33] op_sel:[0,0,1] op_sel_hi:[0,1,0] neg_lo:[1,0,0] neg_hi:[1,0,0]
	v_mov_b32_e32 v18, v45
	v_mov_b32_e32 v57, v33
	v_pk_mul_f32 v[32:33], v[54:55], v[18:19] op_sel_hi:[1,0]
	v_lshrrev_b32_e32 v9, 7, v9
	v_pk_fma_f32 v[44:45], v[16:17], v[54:55], v[32:33] op_sel:[0,0,1] op_sel_hi:[1,1,0]
	v_pk_fma_f32 v[30:31], v[16:17], v[54:55], v[32:33] op_sel:[0,0,1] op_sel_hi:[0,1,0] neg_lo:[1,0,0] neg_hi:[1,0,0]
	v_mov_b32_e32 v45, v31
	v_pk_add_f32 v[30:31], v[48:49], v[56:57] neg_lo:[0,1] neg_hi:[0,1]
	v_pk_add_f32 v[32:33], v[46:47], v[44:45] neg_lo:[0,1] neg_hi:[0,1]
	;; [unrolled: 1-line block ×3, first 2 shown]
	v_pk_add_f32 v[30:31], v[30:31], v[32:33]
	v_pk_add_f32 v[32:33], v[56:57], v[44:45]
	v_pk_add_f32 v[68:69], v[56:57], v[44:45] neg_lo:[0,1] neg_hi:[0,1]
	v_pk_fma_f32 v[32:33], v[32:33], 0.5, v[28:29] op_sel_hi:[1,0,1] neg_lo:[1,0,0] neg_hi:[1,0,0]
	v_pk_add_f32 v[74:75], v[74:75], v[56:57]
	v_pk_fma_f32 v[66:67], v[54:55], s[0:1], v[32:33] op_sel:[1,0,0] op_sel_hi:[0,0,1]
	v_pk_fma_f32 v[32:33], v[54:55], s[0:1], v[32:33] op_sel:[1,0,0] op_sel_hi:[0,0,1] neg_lo:[1,0,0] neg_hi:[1,0,0]
	v_pk_fma_f32 v[32:33], v[68:69], s[4:5], v[32:33] op_sel:[1,0,0] op_sel_hi:[0,0,1] neg_lo:[1,0,0] neg_hi:[1,0,0]
	v_pk_fma_f32 v[66:67], v[68:69], s[4:5], v[66:67] op_sel:[1,0,0] op_sel_hi:[0,0,1]
	v_mov_b32_e32 v72, v66
	v_mov_b32_e32 v73, v33
	;; [unrolled: 1-line block ×3, first 2 shown]
	v_pk_fma_f32 v[72:73], v[30:31], s[2:3], v[72:73] op_sel_hi:[1,0,1]
	v_pk_fma_f32 v[30:31], v[30:31], s[2:3], v[32:33] op_sel_hi:[1,0,1]
	global_store_dwordx2 v[60:61], v[30:31], off
	v_pk_add_f32 v[30:31], v[56:57], v[48:49] neg_lo:[0,1] neg_hi:[0,1]
	v_pk_add_f32 v[32:33], v[44:45], v[46:47] neg_lo:[0,1] neg_hi:[0,1]
	v_mul_u32_u24_e32 v15, 0x188, v9
	v_pk_add_f32 v[30:31], v[30:31], v[32:33]
	v_pk_add_f32 v[32:33], v[48:49], v[46:47]
	;; [unrolled: 1-line block ×3, first 2 shown]
	v_pk_fma_f32 v[28:29], v[32:33], 0.5, v[28:29] op_sel_hi:[1,0,1] neg_lo:[1,0,0] neg_hi:[1,0,0]
	v_sub_u32_e32 v1, v1, v15
	v_pk_fma_f32 v[32:33], v[68:69], s[0:1], v[28:29] op_sel:[1,0,0] op_sel_hi:[0,0,1] neg_lo:[1,0,0] neg_hi:[1,0,0]
	v_pk_fma_f32 v[28:29], v[68:69], s[0:1], v[28:29] op_sel:[1,0,0] op_sel_hi:[0,0,1]
	v_pk_fma_f32 v[28:29], v[54:55], s[4:5], v[28:29] op_sel:[1,0,0] op_sel_hi:[0,0,1] neg_lo:[1,0,0] neg_hi:[1,0,0]
	v_pk_fma_f32 v[32:33], v[54:55], s[4:5], v[32:33] op_sel:[1,0,0] op_sel_hi:[0,0,1]
	v_mov_b32_e32 v45, v29
	v_mov_b32_e32 v29, v33
	v_pk_add_f32 v[74:75], v[46:47], v[74:75]
	v_mov_b32_e32 v44, v32
	v_pk_fma_f32 v[28:29], v[30:31], s[2:3], v[28:29] op_sel_hi:[1,0,1]
	v_mad_u32_u24 v16, v9, s3, v1
	global_store_dwordx2 v[58:59], v[74:75], off
	v_pk_fma_f32 v[44:45], v[30:31], s[2:3], v[44:45] op_sel_hi:[1,0,1]
	global_store_dwordx2 v[62:63], v[28:29], off
	global_store_dwordx2 v[64:65], v[44:45], off
	;; [unrolled: 1-line block ×3, first 2 shown]
	v_add_u32_e32 v28, 0x188, v16
	v_mov_b32_e32 v29, v17
	v_lshl_add_u64 v[48:49], v[28:29], 3, v[12:13]
	v_add_u32_e32 v28, 0x310, v16
	v_lshl_add_u64 v[54:55], v[28:29], 3, v[12:13]
	v_add_u32_e32 v28, 0x498, v16
	v_lshl_add_u64 v[56:57], v[28:29], 3, v[12:13]
	global_load_dwordx4 v[28:31], v[36:37], off offset:3120
	global_load_dwordx4 v[44:47], v[36:37], off offset:3104
	v_lshl_add_u64 v[32:33], v[16:17], 3, v[12:13]
	v_add_u32_e32 v16, 0x620, v16
	v_lshl_add_u64 v[58:59], v[16:17], 3, v[12:13]
	v_mov_b32_e32 v16, v39
	v_add_u32_e32 v1, 0x150, v98
	s_waitcnt vmcnt(7)
	v_pk_mul_f32 v[60:61], v[50:51], v[26:27] op_sel_hi:[1,0]
	s_nop 0
	v_pk_fma_f32 v[62:63], v[6:7], v[50:51], v[60:61] op_sel:[0,0,1] op_sel_hi:[1,1,0]
	v_pk_fma_f32 v[36:37], v[6:7], v[50:51], v[60:61] op_sel:[0,0,1] op_sel_hi:[0,1,0] neg_lo:[1,0,0] neg_hi:[1,0,0]
	v_mov_b32_e32 v63, v37
	v_mov_b32_e32 v6, v21
	v_pk_mul_f32 v[36:37], v[42:43], v[16:17] op_sel_hi:[1,0]
	v_mov_b32_e32 v16, v35
	v_pk_fma_f32 v[38:39], v[6:7], v[42:43], v[36:37] op_sel:[0,0,1] op_sel_hi:[1,1,0]
	v_pk_fma_f32 v[20:21], v[6:7], v[42:43], v[36:37] op_sel:[0,0,1] op_sel_hi:[0,1,0] neg_lo:[1,0,0] neg_hi:[1,0,0]
	v_mov_b32_e32 v39, v21
	v_mov_b32_e32 v6, v19
	v_pk_mul_f32 v[20:21], v[52:53], v[16:17] op_sel_hi:[1,0]
	v_pk_add_f32 v[60:61], v[10:11], v[62:63]
	v_pk_fma_f32 v[34:35], v[6:7], v[52:53], v[20:21] op_sel:[0,0,1] op_sel_hi:[1,1,0]
	v_pk_fma_f32 v[18:19], v[6:7], v[52:53], v[20:21] op_sel:[0,0,1] op_sel_hi:[0,1,0] neg_lo:[1,0,0] neg_hi:[1,0,0]
	v_mov_b32_e32 v35, v19
	v_pk_mul_f32 v[18:19], v[40:41], v[22:23] op_sel_hi:[1,0]
	v_pk_add_f32 v[60:61], v[60:61], v[34:35]
	v_pk_fma_f32 v[20:21], v[4:5], v[40:41], v[18:19] op_sel:[0,0,1] op_sel_hi:[1,1,0]
	v_pk_fma_f32 v[18:19], v[4:5], v[40:41], v[18:19] op_sel:[0,0,1] op_sel_hi:[0,1,0] neg_lo:[1,0,0] neg_hi:[1,0,0]
	v_mov_b32_e32 v21, v19
	v_pk_add_f32 v[18:19], v[62:63], v[34:35] neg_lo:[0,1] neg_hi:[0,1]
	v_pk_add_f32 v[36:37], v[38:39], v[20:21] neg_lo:[0,1] neg_hi:[0,1]
	;; [unrolled: 1-line block ×3, first 2 shown]
	v_pk_add_f32 v[18:19], v[18:19], v[36:37]
	v_pk_add_f32 v[36:37], v[34:35], v[20:21]
	v_pk_add_f32 v[50:51], v[34:35], v[20:21] neg_lo:[0,1] neg_hi:[0,1]
	v_pk_fma_f32 v[36:37], v[36:37], 0.5, v[10:11] op_sel_hi:[1,0,1] neg_lo:[1,0,0] neg_hi:[1,0,0]
	v_pk_add_f32 v[60:61], v[60:61], v[20:21]
	v_pk_fma_f32 v[42:43], v[40:41], s[0:1], v[36:37] op_sel:[1,0,0] op_sel_hi:[0,0,1]
	v_pk_fma_f32 v[36:37], v[40:41], s[0:1], v[36:37] op_sel:[1,0,0] op_sel_hi:[0,0,1] neg_lo:[1,0,0] neg_hi:[1,0,0]
	v_pk_fma_f32 v[36:37], v[50:51], s[4:5], v[36:37] op_sel:[1,0,0] op_sel_hi:[0,0,1] neg_lo:[1,0,0] neg_hi:[1,0,0]
	v_pk_fma_f32 v[42:43], v[50:51], s[4:5], v[42:43] op_sel:[1,0,0] op_sel_hi:[0,0,1]
	v_mov_b32_e32 v52, v42
	v_mov_b32_e32 v53, v37
	;; [unrolled: 1-line block ×3, first 2 shown]
	v_pk_fma_f32 v[52:53], v[18:19], s[2:3], v[52:53] op_sel_hi:[1,0,1]
	v_pk_fma_f32 v[18:19], v[18:19], s[2:3], v[36:37] op_sel_hi:[1,0,1]
	global_store_dwordx2 v[48:49], v[18:19], off
	v_pk_add_f32 v[18:19], v[34:35], v[62:63] neg_lo:[0,1] neg_hi:[0,1]
	v_pk_add_f32 v[20:21], v[20:21], v[38:39] neg_lo:[0,1] neg_hi:[0,1]
	v_mul_hi_u32 v4, v1, s1
	v_pk_add_f32 v[18:19], v[18:19], v[20:21]
	v_pk_add_f32 v[20:21], v[62:63], v[38:39]
	v_lshrrev_b32_e32 v4, 7, v4
	v_pk_fma_f32 v[10:11], v[20:21], 0.5, v[10:11] op_sel_hi:[1,0,1] neg_lo:[1,0,0] neg_hi:[1,0,0]
	v_pk_add_f32 v[60:61], v[38:39], v[60:61]
	v_pk_fma_f32 v[20:21], v[50:51], s[0:1], v[10:11] op_sel:[1,0,0] op_sel_hi:[0,0,1] neg_lo:[1,0,0] neg_hi:[1,0,0]
	v_pk_fma_f32 v[10:11], v[50:51], s[0:1], v[10:11] op_sel:[1,0,0] op_sel_hi:[0,0,1]
	v_pk_fma_f32 v[10:11], v[40:41], s[4:5], v[10:11] op_sel:[1,0,0] op_sel_hi:[0,0,1] neg_lo:[1,0,0] neg_hi:[1,0,0]
	v_pk_fma_f32 v[20:21], v[40:41], s[4:5], v[20:21] op_sel:[1,0,0] op_sel_hi:[0,0,1]
	v_mul_u32_u24_e32 v6, 0x188, v4
	global_store_dwordx2 v[32:33], v[60:61], off
	v_mov_b32_e32 v32, v20
	v_mov_b32_e32 v33, v11
	;; [unrolled: 1-line block ×3, first 2 shown]
	v_sub_u32_e32 v1, v1, v6
	v_pk_fma_f32 v[32:33], v[18:19], s[2:3], v[32:33] op_sel_hi:[1,0,1]
	v_pk_fma_f32 v[10:11], v[18:19], s[2:3], v[10:11] op_sel_hi:[1,0,1]
	v_mad_u32_u24 v16, v4, s3, v1
	global_store_dwordx2 v[54:55], v[10:11], off
	global_store_dwordx2 v[56:57], v[32:33], off
	;; [unrolled: 1-line block ×3, first 2 shown]
	v_lshl_add_u64 v[10:11], v[16:17], 3, v[12:13]
	v_add_u32_e32 v18, 0x188, v16
	v_mov_b32_e32 v19, v17
	v_add_u32_e32 v20, 0x310, v16
	v_mov_b32_e32 v21, v17
	;; [unrolled: 2-line block ×4, first 2 shown]
	v_lshl_add_u64 v[18:19], v[18:19], 3, v[12:13]
	v_lshl_add_u64 v[20:21], v[20:21], 3, v[12:13]
	v_lshl_add_u64 v[32:33], v[32:33], 3, v[12:13]
	v_lshl_add_u64 v[12:13], v[16:17], 3, v[12:13]
	v_mov_b32_e32 v4, v7
	s_waitcnt vmcnt(5)
	v_pk_mul_f32 v[16:17], v[44:45], v[6:7] op_sel_hi:[1,0]
	s_nop 0
	v_pk_fma_f32 v[26:27], v[4:5], v[44:45], v[16:17] op_sel:[0,0,1] op_sel_hi:[1,1,0]
	v_pk_fma_f32 v[6:7], v[4:5], v[44:45], v[16:17] op_sel:[0,0,1] op_sel_hi:[0,1,0] neg_lo:[1,0,0] neg_hi:[1,0,0]
	v_mov_b32_e32 v27, v7
	v_pk_mul_f32 v[6:7], v[30:31], v[14:15] op_sel_hi:[1,0]
	v_mov_b32_e32 v4, v23
	v_pk_fma_f32 v[14:15], v[8:9], v[30:31], v[6:7] op_sel:[0,0,1] op_sel_hi:[1,1,0]
	v_pk_fma_f32 v[6:7], v[8:9], v[30:31], v[6:7] op_sel:[0,0,1] op_sel_hi:[0,1,0] neg_lo:[1,0,0] neg_hi:[1,0,0]
	v_mov_b32_e32 v15, v7
	v_pk_mul_f32 v[6:7], v[46:47], v[24:25] op_sel_hi:[1,0]
	v_pk_add_f32 v[16:17], v[26:27], v[14:15] neg_lo:[0,1] neg_hi:[0,1]
	v_pk_fma_f32 v[8:9], v[0:1], v[46:47], v[6:7] op_sel:[0,0,1] op_sel_hi:[1,1,0]
	v_pk_fma_f32 v[0:1], v[0:1], v[46:47], v[6:7] op_sel:[0,0,1] op_sel_hi:[0,1,0] neg_lo:[1,0,0] neg_hi:[1,0,0]
	v_mov_b32_e32 v0, v5
	v_pk_mul_f32 v[6:7], v[28:29], v[4:5] op_sel_hi:[1,0]
	v_mov_b32_e32 v4, v5
	v_mov_b32_e32 v9, v1
	v_pk_fma_f32 v[0:1], v[0:1], v[28:29], v[6:7] op_sel:[0,0,1] op_sel_hi:[1,1,0]
	v_pk_fma_f32 v[4:5], v[4:5], v[28:29], v[6:7] op_sel:[0,0,1] op_sel_hi:[0,1,0] neg_lo:[1,0,0] neg_hi:[1,0,0]
	v_mov_b32_e32 v1, v5
	v_pk_add_f32 v[4:5], v[26:27], v[8:9] neg_lo:[0,1] neg_hi:[0,1]
	v_pk_add_f32 v[6:7], v[14:15], v[0:1] neg_lo:[0,1] neg_hi:[0,1]
	;; [unrolled: 1-line block ×3, first 2 shown]
	v_pk_add_f32 v[4:5], v[4:5], v[6:7]
	v_pk_add_f32 v[6:7], v[8:9], v[0:1]
	;; [unrolled: 1-line block ×3, first 2 shown]
	v_pk_fma_f32 v[6:7], v[6:7], 0.5, v[2:3] op_sel_hi:[1,0,1] neg_lo:[1,0,0] neg_hi:[1,0,0]
	v_pk_add_f32 v[30:31], v[30:31], v[8:9]
	v_pk_fma_f32 v[22:23], v[16:17], s[0:1], v[6:7] op_sel:[1,0,0] op_sel_hi:[0,0,1]
	v_pk_fma_f32 v[6:7], v[16:17], s[0:1], v[6:7] op_sel:[1,0,0] op_sel_hi:[0,0,1] neg_lo:[1,0,0] neg_hi:[1,0,0]
	v_pk_fma_f32 v[6:7], v[24:25], s[4:5], v[6:7] op_sel:[1,0,0] op_sel_hi:[0,0,1] neg_lo:[1,0,0] neg_hi:[1,0,0]
	v_pk_fma_f32 v[22:23], v[24:25], s[4:5], v[22:23] op_sel:[1,0,0] op_sel_hi:[0,0,1]
	v_mov_b32_e32 v28, v22
	v_mov_b32_e32 v29, v7
	v_mov_b32_e32 v7, v23
	v_pk_fma_f32 v[28:29], v[4:5], s[2:3], v[28:29] op_sel_hi:[1,0,1]
	v_pk_fma_f32 v[4:5], v[4:5], s[2:3], v[6:7] op_sel_hi:[1,0,1]
	v_pk_add_f32 v[30:31], v[30:31], v[0:1]
	global_store_dwordx2 v[18:19], v[4:5], off
	v_pk_add_f32 v[4:5], v[8:9], v[26:27] neg_lo:[0,1] neg_hi:[0,1]
	v_pk_add_f32 v[0:1], v[0:1], v[14:15] neg_lo:[0,1] neg_hi:[0,1]
	v_pk_add_f32 v[30:31], v[14:15], v[30:31]
	v_pk_add_f32 v[0:1], v[4:5], v[0:1]
	;; [unrolled: 1-line block ×3, first 2 shown]
	global_store_dwordx2 v[10:11], v[30:31], off
	v_pk_fma_f32 v[2:3], v[4:5], 0.5, v[2:3] op_sel_hi:[1,0,1] neg_lo:[1,0,0] neg_hi:[1,0,0]
	s_nop 0
	v_pk_fma_f32 v[4:5], v[24:25], s[0:1], v[2:3] op_sel:[1,0,0] op_sel_hi:[0,0,1] neg_lo:[1,0,0] neg_hi:[1,0,0]
	v_pk_fma_f32 v[2:3], v[24:25], s[0:1], v[2:3] op_sel:[1,0,0] op_sel_hi:[0,0,1]
	v_pk_fma_f32 v[2:3], v[16:17], s[4:5], v[2:3] op_sel:[1,0,0] op_sel_hi:[0,0,1] neg_lo:[1,0,0] neg_hi:[1,0,0]
	v_pk_fma_f32 v[4:5], v[16:17], s[4:5], v[4:5] op_sel:[1,0,0] op_sel_hi:[0,0,1]
	v_mov_b32_e32 v6, v4
	v_mov_b32_e32 v7, v3
	;; [unrolled: 1-line block ×3, first 2 shown]
	v_pk_fma_f32 v[6:7], v[0:1], s[2:3], v[6:7] op_sel_hi:[1,0,1]
	v_pk_fma_f32 v[0:1], v[0:1], s[2:3], v[2:3] op_sel_hi:[1,0,1]
	global_store_dwordx2 v[20:21], v[0:1], off
	global_store_dwordx2 v[32:33], v[6:7], off
	;; [unrolled: 1-line block ×3, first 2 shown]
.LBB0_29:
	s_endpgm
	.section	.rodata,"a",@progbits
	.p2align	6, 0x0
	.amdhsa_kernel fft_rtc_back_len1960_factors_4_7_2_7_5_wgs_56_tpt_56_halfLds_sp_op_CI_CI_unitstride_sbrr_dirReg
		.amdhsa_group_segment_fixed_size 0
		.amdhsa_private_segment_fixed_size 0
		.amdhsa_kernarg_size 104
		.amdhsa_user_sgpr_count 2
		.amdhsa_user_sgpr_dispatch_ptr 0
		.amdhsa_user_sgpr_queue_ptr 0
		.amdhsa_user_sgpr_kernarg_segment_ptr 1
		.amdhsa_user_sgpr_dispatch_id 0
		.amdhsa_user_sgpr_kernarg_preload_length 0
		.amdhsa_user_sgpr_kernarg_preload_offset 0
		.amdhsa_user_sgpr_private_segment_size 0
		.amdhsa_uses_dynamic_stack 0
		.amdhsa_enable_private_segment 0
		.amdhsa_system_sgpr_workgroup_id_x 1
		.amdhsa_system_sgpr_workgroup_id_y 0
		.amdhsa_system_sgpr_workgroup_id_z 0
		.amdhsa_system_sgpr_workgroup_info 0
		.amdhsa_system_vgpr_workitem_id 0
		.amdhsa_next_free_vgpr 181
		.amdhsa_next_free_sgpr 28
		.amdhsa_accum_offset 184
		.amdhsa_reserve_vcc 1
		.amdhsa_float_round_mode_32 0
		.amdhsa_float_round_mode_16_64 0
		.amdhsa_float_denorm_mode_32 3
		.amdhsa_float_denorm_mode_16_64 3
		.amdhsa_dx10_clamp 1
		.amdhsa_ieee_mode 1
		.amdhsa_fp16_overflow 0
		.amdhsa_tg_split 0
		.amdhsa_exception_fp_ieee_invalid_op 0
		.amdhsa_exception_fp_denorm_src 0
		.amdhsa_exception_fp_ieee_div_zero 0
		.amdhsa_exception_fp_ieee_overflow 0
		.amdhsa_exception_fp_ieee_underflow 0
		.amdhsa_exception_fp_ieee_inexact 0
		.amdhsa_exception_int_div_zero 0
	.end_amdhsa_kernel
	.text
.Lfunc_end0:
	.size	fft_rtc_back_len1960_factors_4_7_2_7_5_wgs_56_tpt_56_halfLds_sp_op_CI_CI_unitstride_sbrr_dirReg, .Lfunc_end0-fft_rtc_back_len1960_factors_4_7_2_7_5_wgs_56_tpt_56_halfLds_sp_op_CI_CI_unitstride_sbrr_dirReg
                                        ; -- End function
	.section	.AMDGPU.csdata,"",@progbits
; Kernel info:
; codeLenInByte = 18536
; NumSgprs: 34
; NumVgprs: 181
; NumAgprs: 0
; TotalNumVgprs: 181
; ScratchSize: 0
; MemoryBound: 0
; FloatMode: 240
; IeeeMode: 1
; LDSByteSize: 0 bytes/workgroup (compile time only)
; SGPRBlocks: 4
; VGPRBlocks: 22
; NumSGPRsForWavesPerEU: 34
; NumVGPRsForWavesPerEU: 181
; AccumOffset: 184
; Occupancy: 2
; WaveLimiterHint : 1
; COMPUTE_PGM_RSRC2:SCRATCH_EN: 0
; COMPUTE_PGM_RSRC2:USER_SGPR: 2
; COMPUTE_PGM_RSRC2:TRAP_HANDLER: 0
; COMPUTE_PGM_RSRC2:TGID_X_EN: 1
; COMPUTE_PGM_RSRC2:TGID_Y_EN: 0
; COMPUTE_PGM_RSRC2:TGID_Z_EN: 0
; COMPUTE_PGM_RSRC2:TIDIG_COMP_CNT: 0
; COMPUTE_PGM_RSRC3_GFX90A:ACCUM_OFFSET: 45
; COMPUTE_PGM_RSRC3_GFX90A:TG_SPLIT: 0
	.text
	.p2alignl 6, 3212836864
	.fill 256, 4, 3212836864
	.type	__hip_cuid_7a77789ddac9c1ad,@object ; @__hip_cuid_7a77789ddac9c1ad
	.section	.bss,"aw",@nobits
	.globl	__hip_cuid_7a77789ddac9c1ad
__hip_cuid_7a77789ddac9c1ad:
	.byte	0                               ; 0x0
	.size	__hip_cuid_7a77789ddac9c1ad, 1

	.ident	"AMD clang version 19.0.0git (https://github.com/RadeonOpenCompute/llvm-project roc-6.4.0 25133 c7fe45cf4b819c5991fe208aaa96edf142730f1d)"
	.section	".note.GNU-stack","",@progbits
	.addrsig
	.addrsig_sym __hip_cuid_7a77789ddac9c1ad
	.amdgpu_metadata
---
amdhsa.kernels:
  - .agpr_count:     0
    .args:
      - .actual_access:  read_only
        .address_space:  global
        .offset:         0
        .size:           8
        .value_kind:     global_buffer
      - .offset:         8
        .size:           8
        .value_kind:     by_value
      - .actual_access:  read_only
        .address_space:  global
        .offset:         16
        .size:           8
        .value_kind:     global_buffer
      - .actual_access:  read_only
        .address_space:  global
        .offset:         24
        .size:           8
        .value_kind:     global_buffer
      - .actual_access:  read_only
        .address_space:  global
        .offset:         32
        .size:           8
        .value_kind:     global_buffer
      - .offset:         40
        .size:           8
        .value_kind:     by_value
      - .actual_access:  read_only
        .address_space:  global
        .offset:         48
        .size:           8
        .value_kind:     global_buffer
      - .actual_access:  read_only
        .address_space:  global
        .offset:         56
        .size:           8
        .value_kind:     global_buffer
      - .offset:         64
        .size:           4
        .value_kind:     by_value
      - .actual_access:  read_only
        .address_space:  global
        .offset:         72
        .size:           8
        .value_kind:     global_buffer
      - .actual_access:  read_only
        .address_space:  global
        .offset:         80
        .size:           8
        .value_kind:     global_buffer
      - .actual_access:  read_only
        .address_space:  global
        .offset:         88
        .size:           8
        .value_kind:     global_buffer
      - .actual_access:  write_only
        .address_space:  global
        .offset:         96
        .size:           8
        .value_kind:     global_buffer
    .group_segment_fixed_size: 0
    .kernarg_segment_align: 8
    .kernarg_segment_size: 104
    .language:       OpenCL C
    .language_version:
      - 2
      - 0
    .max_flat_workgroup_size: 56
    .name:           fft_rtc_back_len1960_factors_4_7_2_7_5_wgs_56_tpt_56_halfLds_sp_op_CI_CI_unitstride_sbrr_dirReg
    .private_segment_fixed_size: 0
    .sgpr_count:     34
    .sgpr_spill_count: 0
    .symbol:         fft_rtc_back_len1960_factors_4_7_2_7_5_wgs_56_tpt_56_halfLds_sp_op_CI_CI_unitstride_sbrr_dirReg.kd
    .uniform_work_group_size: 1
    .uses_dynamic_stack: false
    .vgpr_count:     181
    .vgpr_spill_count: 0
    .wavefront_size: 64
amdhsa.target:   amdgcn-amd-amdhsa--gfx950
amdhsa.version:
  - 1
  - 2
...

	.end_amdgpu_metadata
